;; amdgpu-corpus repo=zjin-lcf/HeCBench kind=compiled arch=gfx1250 opt=O3
	.amdgcn_target "amdgcn-amd-amdhsa--gfx1250"
	.amdhsa_code_object_version 6
	.text
	.protected	_Z15kernel_distancePK15HIP_vector_typeIfLj4EEPfi ; -- Begin function _Z15kernel_distancePK15HIP_vector_typeIfLj4EEPfi
	.globl	_Z15kernel_distancePK15HIP_vector_typeIfLj4EEPfi
	.p2align	8
	.type	_Z15kernel_distancePK15HIP_vector_typeIfLj4EEPfi,@function
_Z15kernel_distancePK15HIP_vector_typeIfLj4EEPfi: ; @_Z15kernel_distancePK15HIP_vector_typeIfLj4EEPfi
; %bb.0:
	s_clause 0x1
	s_load_b32 s2, s[0:1], 0x24
	s_load_b32 s3, s[0:1], 0x10
	s_bfe_u32 s4, ttmp6, 0x4000c
	s_and_b32 s5, ttmp6, 15
	s_add_co_i32 s4, s4, 1
	s_getreg_b32 s6, hwreg(HW_REG_IB_STS2, 6, 4)
	s_mul_i32 s4, ttmp9, s4
	s_delay_alu instid0(SALU_CYCLE_1) | instskip(SKIP_4) | instid1(SALU_CYCLE_1)
	s_add_co_i32 s5, s5, s4
	s_wait_kmcnt 0x0
	s_and_b32 s2, s2, 0xffff
	s_cmp_eq_u32 s6, 0
	s_cselect_b32 s4, ttmp9, s5
	v_mad_u32 v4, s4, s2, v0
	s_mov_b32 s2, exec_lo
	s_delay_alu instid0(VALU_DEP_1)
	v_cmpx_gt_i32_e64 s3, v4
	s_cbranch_execz .LBB0_30
; %bb.1:
	s_load_b64 s[2:3], s[0:1], 0x0
                                        ; implicit-def: $vgpr8
                                        ; implicit-def: $vgpr7
	s_wait_kmcnt 0x0
	global_load_b128 v[0:3], v4, s[2:3] scale_offset
	s_wait_loadcnt 0x0
	v_mul_f32_e32 v0, 0x3c8efa35, v0
	s_delay_alu instid0(VALU_DEP_1) | instskip(NEXT) | instid1(VALU_DEP_1)
	v_and_b32_e32 v6, 0x7fffffff, v0
	v_lshrrev_b32_e32 v5, 23, v6
	v_cmp_ngt_f32_e64 s4, 0x48000000, |v0|
	s_and_saveexec_b32 s2, s4
	s_delay_alu instid0(SALU_CYCLE_1)
	s_xor_b32 s5, exec_lo, s2
	s_cbranch_execz .LBB0_3
; %bb.2:
	s_mov_b32 s2, 0x7fffff
	v_mov_b32_e32 v9, 0
	v_and_or_b32 v8, v6, s2, 0x800000
	s_mov_b64 s[2:3], 0xfe5163ab
	v_add_nc_u32_e32 v7, 0xffffff88, v5
	s_delay_alu instid0(VALU_DEP_2) | instskip(NEXT) | instid1(VALU_DEP_2)
	v_mul_u64_e32 v[10:11], s[2:3], v[8:9]
	v_cmp_lt_u32_e32 vcc_lo, 63, v7
	s_delay_alu instid0(VALU_DEP_2) | instskip(SKIP_2) | instid1(VALU_DEP_3)
	v_dual_mov_b32 v12, v11 :: v_dual_mov_b32 v13, v9
	v_dual_mov_b32 v15, v9 :: v_dual_mov_b32 v17, v9
	;; [unrolled: 1-line block ×3, first 2 shown]
	v_mad_nc_u64_u32 v[12:13], 0x3c439041, v8, v[12:13]
	v_cndmask_b32_e64 v11, 0, 0xffffffc0, vcc_lo
	s_delay_alu instid0(VALU_DEP_1) | instskip(NEXT) | instid1(VALU_DEP_3)
	v_dual_mov_b32 v23, v9 :: v_dual_add_nc_u32 v7, v11, v7
	v_mov_b32_e32 v14, v13
	s_delay_alu instid0(VALU_DEP_2) | instskip(NEXT) | instid1(VALU_DEP_2)
	v_cmp_lt_u32_e64 s2, 31, v7
	v_mad_nc_u64_u32 v[14:15], 0xdb629599, v8, v[14:15]
	s_delay_alu instid0(VALU_DEP_2) | instskip(NEXT) | instid1(VALU_DEP_1)
	v_cndmask_b32_e64 v11, 0, 0xffffffe0, s2
	v_add_nc_u32_e32 v7, v11, v7
	s_delay_alu instid0(VALU_DEP_3) | instskip(NEXT) | instid1(VALU_DEP_2)
	v_mov_b32_e32 v16, v15
	v_cmp_lt_u32_e64 s3, 31, v7
	v_cndmask_b32_e32 v10, v14, v10, vcc_lo
	s_delay_alu instid0(VALU_DEP_3) | instskip(NEXT) | instid1(VALU_DEP_3)
	v_mad_nc_u64_u32 v[16:17], 0xf534ddc0, v8, v[16:17]
	v_cndmask_b32_e64 v11, 0, 0xffffffe0, s3
	s_delay_alu instid0(VALU_DEP_1) | instskip(NEXT) | instid1(VALU_DEP_3)
	v_dual_add_nc_u32 v7, v11, v7 :: v_dual_cndmask_b32 v11, v16, v12, vcc_lo
	v_mov_b32_e32 v18, v17
	s_delay_alu instid0(VALU_DEP_1) | instskip(NEXT) | instid1(VALU_DEP_1)
	v_mad_nc_u64_u32 v[18:19], 0xfc2757d1, v8, v[18:19]
	v_dual_mov_b32 v20, v19 :: v_dual_cndmask_b32 v15, v18, v14
	s_delay_alu instid0(VALU_DEP_1) | instskip(NEXT) | instid1(VALU_DEP_1)
	v_mad_nc_u64_u32 v[20:21], 0x4e441529, v8, v[20:21]
	v_dual_mov_b32 v22, v21 :: v_dual_cndmask_b32 v13, v20, v16
	s_delay_alu instid0(VALU_DEP_1) | instskip(NEXT) | instid1(VALU_DEP_1)
	v_mad_nc_u64_u32 v[8:9], 0xa2f9836e, v8, v[22:23]
	v_dual_cndmask_b32 v8, v8, v18 :: v_dual_cndmask_b32 v9, v9, v20
	v_cmp_eq_u32_e32 vcc_lo, 0, v7
	s_delay_alu instid0(VALU_DEP_2) | instskip(SKIP_2) | instid1(VALU_DEP_3)
	v_dual_cndmask_b32 v12, v8, v13, s2 :: v_dual_cndmask_b32 v8, v9, v8, s2
	v_cndmask_b32_e64 v9, v13, v15, s2
	v_sub_nc_u32_e32 v13, 32, v7
	v_dual_cndmask_b32 v15, v15, v11, s2 :: v_dual_cndmask_b32 v8, v8, v12, s3
	s_delay_alu instid0(VALU_DEP_3) | instskip(NEXT) | instid1(VALU_DEP_1)
	v_cndmask_b32_e64 v12, v12, v9, s3
	v_alignbit_b32 v16, v8, v12, v13
	s_delay_alu instid0(VALU_DEP_1) | instskip(NEXT) | instid1(VALU_DEP_1)
	v_dual_cndmask_b32 v9, v9, v15, s3 :: v_dual_cndmask_b32 v7, v16, v8, vcc_lo
	v_alignbit_b32 v14, v12, v9, v13
	v_cndmask_b32_e64 v8, v11, v10, s2
	s_delay_alu instid0(VALU_DEP_3) | instskip(NEXT) | instid1(VALU_DEP_3)
	v_bfe_u32 v11, v7, 29, 1
	v_cndmask_b32_e32 v10, v14, v12, vcc_lo
	s_delay_alu instid0(VALU_DEP_2) | instskip(NEXT) | instid1(VALU_DEP_2)
	v_dual_cndmask_b32 v8, v15, v8, s3 :: v_dual_sub_nc_u32 v14, 0, v11
	v_alignbit_b32 v12, v7, v10, 30
	s_delay_alu instid0(VALU_DEP_2) | instskip(NEXT) | instid1(VALU_DEP_1)
	v_alignbit_b32 v13, v9, v8, v13
	v_dual_cndmask_b32 v9, v13, v9, vcc_lo :: v_dual_bitop2_b32 v12, v12, v14 bitop3:0x14
	s_delay_alu instid0(VALU_DEP_1) | instskip(NEXT) | instid1(VALU_DEP_2)
	v_clz_i32_u32_e32 v13, v12
	v_alignbit_b32 v10, v10, v9, 30
	v_alignbit_b32 v8, v9, v8, 30
	s_delay_alu instid0(VALU_DEP_3) | instskip(NEXT) | instid1(VALU_DEP_3)
	v_min_u32_e32 v13, 32, v13
	v_xor_b32_e32 v9, v10, v14
	s_delay_alu instid0(VALU_DEP_3) | instskip(NEXT) | instid1(VALU_DEP_3)
	v_dual_lshrrev_b32 v14, 29, v7 :: v_dual_bitop2_b32 v8, v8, v14 bitop3:0x14
	v_dual_sub_nc_u32 v10, 31, v13 :: v_dual_lshlrev_b32 v15, 23, v13
	s_delay_alu instid0(VALU_DEP_1) | instskip(NEXT) | instid1(VALU_DEP_3)
	v_alignbit_b32 v12, v12, v9, v10
	v_alignbit_b32 v8, v9, v8, v10
	s_delay_alu instid0(VALU_DEP_4) | instskip(NEXT) | instid1(VALU_DEP_2)
	v_lshlrev_b32_e32 v9, 31, v14
	v_alignbit_b32 v10, v12, v8, 9
	s_delay_alu instid0(VALU_DEP_2) | instskip(SKIP_1) | instid1(VALU_DEP_3)
	v_dual_lshrrev_b32 v12, 9, v12 :: v_dual_bitop2_b32 v14, 0.5, v9 bitop3:0x54
	v_or_b32_e32 v9, 0x33000000, v9
	v_clz_i32_u32_e32 v16, v10
	s_delay_alu instid0(VALU_DEP_3) | instskip(NEXT) | instid1(VALU_DEP_2)
	v_sub_nc_u32_e32 v14, v14, v15
	v_min_u32_e32 v15, 32, v16
	s_delay_alu instid0(VALU_DEP_1) | instskip(NEXT) | instid1(VALU_DEP_1)
	v_add_lshl_u32 v13, v15, v13, 23
	v_dual_sub_nc_u32 v9, v9, v13 :: v_dual_bitop2_b32 v12, v12, v14 bitop3:0x54
	v_not_b32_e32 v14, v15
	s_delay_alu instid0(VALU_DEP_1) | instskip(NEXT) | instid1(VALU_DEP_1)
	v_alignbit_b32 v8, v10, v8, v14
	v_lshrrev_b32_e32 v8, 9, v8
	s_delay_alu instid0(VALU_DEP_4) | instskip(NEXT) | instid1(VALU_DEP_2)
	v_mul_f32_e32 v16, 0x3fc90fda, v12
	v_or_b32_e32 v8, v9, v8
	s_delay_alu instid0(VALU_DEP_2) | instskip(NEXT) | instid1(VALU_DEP_1)
	v_fma_f32 v10, 0x3fc90fda, v12, -v16
	v_fmamk_f32 v10, v12, 0x33a22168, v10
	s_delay_alu instid0(VALU_DEP_1) | instskip(NEXT) | instid1(VALU_DEP_1)
	v_fmac_f32_e32 v10, 0x3fc90fda, v8
	v_dual_add_f32 v7, v16, v10 :: v_dual_lshrrev_b32 v8, 30, v7
	s_delay_alu instid0(VALU_DEP_1)
	v_add_nc_u32_e32 v8, v11, v8
	s_or_saveexec_b32 s2, s5
	v_mul_f32_e64 v11, 0x3f22f983, |v0|
	s_xor_b32 exec_lo, exec_lo, s2
	s_branch .LBB0_4
.LBB0_3:
	s_or_saveexec_b32 s2, s5
	v_mul_f32_e64 v11, 0x3f22f983, |v0|
	s_xor_b32 exec_lo, exec_lo, s2
.LBB0_4:
	s_delay_alu instid0(VALU_DEP_1) | instskip(NEXT) | instid1(VALU_DEP_1)
	v_rndne_f32_e32 v8, v11
	v_fma_f32 v7, 0xbfc90fda, v8, |v0|
	s_delay_alu instid0(VALU_DEP_1) | instskip(NEXT) | instid1(VALU_DEP_1)
	v_fmamk_f32 v7, v8, 0xb3a22168, v7
	v_fmamk_f32 v7, v8, 0xa7c234c4, v7
	v_cvt_i32_f32_e32 v8, v8
; %bb.5:
	s_or_b32 exec_lo, exec_lo, s2
                                        ; implicit-def: $vgpr10
                                        ; implicit-def: $vgpr9
	s_and_saveexec_b32 s2, s4
	s_delay_alu instid0(SALU_CYCLE_1)
	s_xor_b32 s4, exec_lo, s2
	s_cbranch_execz .LBB0_7
; %bb.6:
	s_mov_b32 s2, 0x7fffff
	v_mov_b32_e32 v11, 0
	v_and_or_b32 v10, v6, s2, 0x800000
	s_mov_b64 s[2:3], 0xfe5163ab
	v_add_nc_u32_e32 v5, 0xffffff88, v5
	s_delay_alu instid0(VALU_DEP_2) | instskip(NEXT) | instid1(VALU_DEP_2)
	v_mul_u64_e32 v[12:13], s[2:3], v[10:11]
	v_cmp_lt_u32_e32 vcc_lo, 63, v5
	v_cndmask_b32_e64 v9, 0, 0xffffffc0, vcc_lo
	s_delay_alu instid0(VALU_DEP_3) | instskip(SKIP_2) | instid1(VALU_DEP_3)
	v_dual_mov_b32 v14, v13 :: v_dual_mov_b32 v15, v11
	v_dual_mov_b32 v17, v11 :: v_dual_mov_b32 v19, v11
	;; [unrolled: 1-line block ×3, first 2 shown]
	v_mad_nc_u64_u32 v[14:15], 0x3c439041, v10, v[14:15]
	v_dual_add_nc_u32 v5, v9, v5 :: v_dual_mov_b32 v25, v11
	s_delay_alu instid0(VALU_DEP_1) | instskip(NEXT) | instid1(VALU_DEP_3)
	v_cmp_lt_u32_e64 s2, 31, v5
	v_mov_b32_e32 v16, v15
	s_delay_alu instid0(VALU_DEP_2) | instskip(NEXT) | instid1(VALU_DEP_2)
	v_cndmask_b32_e64 v9, 0, 0xffffffe0, s2
	v_mad_nc_u64_u32 v[16:17], 0xdb629599, v10, v[16:17]
	s_delay_alu instid0(VALU_DEP_2) | instskip(NEXT) | instid1(VALU_DEP_1)
	v_add_nc_u32_e32 v5, v9, v5
	v_cmp_lt_u32_e64 s3, 31, v5
	s_delay_alu instid0(VALU_DEP_3) | instskip(NEXT) | instid1(VALU_DEP_2)
	v_mov_b32_e32 v18, v17
	v_cndmask_b32_e64 v9, 0, 0xffffffe0, s3
	v_cndmask_b32_e32 v12, v16, v12, vcc_lo
	s_delay_alu instid0(VALU_DEP_3) | instskip(NEXT) | instid1(VALU_DEP_1)
	v_mad_nc_u64_u32 v[18:19], 0xf534ddc0, v10, v[18:19]
	v_dual_add_nc_u32 v5, v9, v5 :: v_dual_cndmask_b32 v9, v18, v14, vcc_lo
	s_delay_alu instid0(VALU_DEP_2) | instskip(NEXT) | instid1(VALU_DEP_1)
	v_mov_b32_e32 v20, v19
	v_mad_nc_u64_u32 v[20:21], 0xfc2757d1, v10, v[20:21]
	s_delay_alu instid0(VALU_DEP_1) | instskip(NEXT) | instid1(VALU_DEP_1)
	v_dual_mov_b32 v22, v21 :: v_dual_cndmask_b32 v15, v20, v16
	v_mad_nc_u64_u32 v[22:23], 0x4e441529, v10, v[22:23]
	s_delay_alu instid0(VALU_DEP_1) | instskip(NEXT) | instid1(VALU_DEP_1)
	v_dual_mov_b32 v24, v23 :: v_dual_cndmask_b32 v13, v22, v18
	v_mad_nc_u64_u32 v[10:11], 0xa2f9836e, v10, v[24:25]
	s_delay_alu instid0(VALU_DEP_1) | instskip(SKIP_1) | instid1(VALU_DEP_2)
	v_dual_cndmask_b32 v10, v10, v20 :: v_dual_cndmask_b32 v11, v11, v22
	v_cmp_eq_u32_e32 vcc_lo, 0, v5
	v_dual_cndmask_b32 v14, v10, v13, s2 :: v_dual_cndmask_b32 v10, v11, v10, s2
	v_dual_cndmask_b32 v11, v13, v15, s2 :: v_dual_sub_nc_u32 v13, 32, v5
	s_delay_alu instid0(VALU_DEP_2) | instskip(NEXT) | instid1(VALU_DEP_2)
	v_dual_cndmask_b32 v15, v15, v9, s2 :: v_dual_cndmask_b32 v10, v10, v14, s3
	v_cndmask_b32_e64 v14, v14, v11, s3
	s_delay_alu instid0(VALU_DEP_1) | instskip(NEXT) | instid1(VALU_DEP_1)
	v_alignbit_b32 v17, v10, v14, v13
	v_dual_cndmask_b32 v11, v11, v15, s3 :: v_dual_cndmask_b32 v5, v17, v10, vcc_lo
	s_delay_alu instid0(VALU_DEP_1) | instskip(SKIP_1) | instid1(VALU_DEP_3)
	v_alignbit_b32 v16, v14, v11, v13
	v_cndmask_b32_e64 v9, v9, v12, s2
	v_bfe_u32 v12, v5, 29, 1
	s_delay_alu instid0(VALU_DEP_2) | instskip(NEXT) | instid1(VALU_DEP_2)
	v_dual_cndmask_b32 v10, v16, v14, vcc_lo :: v_dual_cndmask_b32 v9, v15, v9, s3
	v_sub_nc_u32_e32 v15, 0, v12
	s_delay_alu instid0(VALU_DEP_2) | instskip(NEXT) | instid1(VALU_DEP_3)
	v_alignbit_b32 v14, v5, v10, 30
	v_alignbit_b32 v13, v11, v9, v13
	s_delay_alu instid0(VALU_DEP_2) | instskip(NEXT) | instid1(VALU_DEP_2)
	v_xor_b32_e32 v14, v14, v15
	v_cndmask_b32_e32 v11, v13, v11, vcc_lo
	s_delay_alu instid0(VALU_DEP_2) | instskip(NEXT) | instid1(VALU_DEP_2)
	v_clz_i32_u32_e32 v13, v14
	v_alignbit_b32 v10, v10, v11, 30
	v_alignbit_b32 v9, v11, v9, 30
	s_delay_alu instid0(VALU_DEP_3) | instskip(NEXT) | instid1(VALU_DEP_3)
	v_min_u32_e32 v13, 32, v13
	v_xor_b32_e32 v10, v10, v15
	s_delay_alu instid0(VALU_DEP_3) | instskip(SKIP_1) | instid1(VALU_DEP_4)
	v_dual_lshrrev_b32 v15, 29, v5 :: v_dual_bitop2_b32 v9, v9, v15 bitop3:0x14
	v_lshrrev_b32_e32 v5, 30, v5
	v_dual_sub_nc_u32 v11, 31, v13 :: v_dual_lshlrev_b32 v16, 23, v13
	s_delay_alu instid0(VALU_DEP_1) | instskip(NEXT) | instid1(VALU_DEP_4)
	v_alignbit_b32 v14, v14, v10, v11
	v_alignbit_b32 v9, v10, v9, v11
	v_lshlrev_b32_e32 v10, 31, v15
	s_delay_alu instid0(VALU_DEP_2) | instskip(NEXT) | instid1(VALU_DEP_2)
	v_alignbit_b32 v11, v14, v9, 9
	v_or_b32_e32 v15, 0.5, v10
	v_or_b32_e32 v10, 0x33000000, v10
	v_lshrrev_b32_e32 v14, 9, v14
	s_delay_alu instid0(VALU_DEP_4) | instskip(NEXT) | instid1(VALU_DEP_4)
	v_clz_i32_u32_e32 v17, v11
	v_sub_nc_u32_e32 v15, v15, v16
	s_delay_alu instid0(VALU_DEP_2) | instskip(NEXT) | instid1(VALU_DEP_2)
	v_min_u32_e32 v16, 32, v17
	v_or_b32_e32 v14, v14, v15
	s_delay_alu instid0(VALU_DEP_2) | instskip(SKIP_1) | instid1(VALU_DEP_2)
	v_not_b32_e32 v15, v16
	v_add_lshl_u32 v13, v16, v13, 23
	v_alignbit_b32 v9, v11, v9, v15
	s_delay_alu instid0(VALU_DEP_2) | instskip(NEXT) | instid1(VALU_DEP_2)
	v_sub_nc_u32_e32 v10, v10, v13
	v_lshrrev_b32_e32 v9, 9, v9
	v_mul_f32_e32 v17, 0x3fc90fda, v14
	s_delay_alu instid0(VALU_DEP_2) | instskip(SKIP_1) | instid1(VALU_DEP_3)
	v_or_b32_e32 v9, v10, v9
	v_add_nc_u32_e32 v10, v12, v5
	v_fma_f32 v11, 0x3fc90fda, v14, -v17
	s_delay_alu instid0(VALU_DEP_1) | instskip(NEXT) | instid1(VALU_DEP_1)
	v_fmamk_f32 v11, v14, 0x33a22168, v11
	v_fmac_f32_e32 v11, 0x3fc90fda, v9
	s_delay_alu instid0(VALU_DEP_1)
	v_add_f32_e32 v9, v17, v11
                                        ; implicit-def: $vgpr11
	s_and_not1_saveexec_b32 s2, s4
	s_cbranch_execnz .LBB0_8
	s_branch .LBB0_9
.LBB0_7:
	s_and_not1_saveexec_b32 s2, s4
.LBB0_8:
	v_rndne_f32_e32 v5, v11
	s_delay_alu instid0(VALU_DEP_1) | instskip(SKIP_1) | instid1(VALU_DEP_2)
	v_fma_f32 v9, 0xbfc90fda, v5, |v0|
	v_cvt_i32_f32_e32 v10, v5
	v_fmamk_f32 v9, v5, 0xb3a22168, v9
	s_delay_alu instid0(VALU_DEP_1)
	v_fmamk_f32 v9, v5, 0xa7c234c4, v9
.LBB0_9:
	s_or_b32 exec_lo, exec_lo, s2
	v_mul_f32_e32 v2, 0x3c8efa35, v2
                                        ; implicit-def: $vgpr13
                                        ; implicit-def: $vgpr12
	s_delay_alu instid0(VALU_DEP_1) | instskip(NEXT) | instid1(VALU_DEP_1)
	v_and_b32_e32 v11, 0x7fffffff, v2
	v_lshrrev_b32_e32 v5, 23, v11
	v_cmp_ngt_f32_e64 s4, 0x48000000, |v2|
	s_and_saveexec_b32 s2, s4
	s_delay_alu instid0(SALU_CYCLE_1)
	s_xor_b32 s5, exec_lo, s2
	s_cbranch_execz .LBB0_11
; %bb.10:
	s_mov_b32 s2, 0x7fffff
	v_mov_b32_e32 v13, 0
	v_and_or_b32 v12, v11, s2, 0x800000
	s_mov_b64 s[2:3], 0xfe5163ab
	s_delay_alu instid0(VALU_DEP_1) | instid1(SALU_CYCLE_1)
	v_mul_u64_e32 v[14:15], s[2:3], v[12:13]
	s_delay_alu instid0(VALU_DEP_1) | instskip(SKIP_2) | instid1(VALU_DEP_3)
	v_dual_mov_b32 v16, v15 :: v_dual_mov_b32 v17, v13
	v_dual_mov_b32 v19, v13 :: v_dual_mov_b32 v21, v13
	;; [unrolled: 1-line block ×3, first 2 shown]
	v_mad_nc_u64_u32 v[16:17], 0x3c439041, v12, v[16:17]
	v_add_nc_u32_e32 v15, 0xffffff88, v5
	s_delay_alu instid0(VALU_DEP_1) | instskip(NEXT) | instid1(VALU_DEP_3)
	v_cmp_lt_u32_e32 vcc_lo, 63, v15
	v_mov_b32_e32 v18, v17
	v_cndmask_b32_e64 v17, 0, 0xffffffc0, vcc_lo
	s_delay_alu instid0(VALU_DEP_2) | instskip(NEXT) | instid1(VALU_DEP_1)
	v_mad_nc_u64_u32 v[18:19], 0xdb629599, v12, v[18:19]
	v_dual_mov_b32 v20, v19 :: v_dual_cndmask_b32 v14, v18, v14, vcc_lo
	s_delay_alu instid0(VALU_DEP_1) | instskip(NEXT) | instid1(VALU_DEP_1)
	v_mad_nc_u64_u32 v[20:21], 0xf534ddc0, v12, v[20:21]
	v_dual_mov_b32 v22, v21 :: v_dual_cndmask_b32 v16, v20, v16, vcc_lo
	s_delay_alu instid0(VALU_DEP_1) | instskip(NEXT) | instid1(VALU_DEP_1)
	v_mad_nc_u64_u32 v[22:23], 0xfc2757d1, v12, v[22:23]
	v_dual_mov_b32 v24, v23 :: v_dual_cndmask_b32 v21, v22, v18
	s_delay_alu instid0(VALU_DEP_1) | instskip(SKIP_1) | instid1(VALU_DEP_2)
	v_mad_nc_u64_u32 v[24:25], 0x4e441529, v12, v[24:25]
	v_add_nc_u32_e32 v15, v17, v15
	v_dual_mov_b32 v27, v13 :: v_dual_mov_b32 v26, v25
	s_delay_alu instid0(VALU_DEP_3) | instskip(NEXT) | instid1(VALU_DEP_3)
	v_cndmask_b32_e32 v19, v24, v20, vcc_lo
	v_cmp_lt_u32_e64 s2, 31, v15
	s_delay_alu instid0(VALU_DEP_3) | instskip(NEXT) | instid1(VALU_DEP_2)
	v_mad_nc_u64_u32 v[12:13], 0xa2f9836e, v12, v[26:27]
	v_cndmask_b32_e64 v17, 0, 0xffffffe0, s2
	s_delay_alu instid0(VALU_DEP_1) | instskip(NEXT) | instid1(VALU_DEP_3)
	v_dual_cndmask_b32 v14, v16, v14, s2 :: v_dual_add_nc_u32 v15, v17, v15
	v_cndmask_b32_e32 v12, v12, v22, vcc_lo
	s_delay_alu instid0(VALU_DEP_2) | instskip(SKIP_1) | instid1(VALU_DEP_2)
	v_cmp_lt_u32_e64 s3, 31, v15
	v_cndmask_b32_e32 v13, v13, v24, vcc_lo
	v_cndmask_b32_e64 v17, 0, 0xffffffe0, s3
	s_delay_alu instid0(VALU_DEP_1) | instskip(NEXT) | instid1(VALU_DEP_3)
	v_add_nc_u32_e32 v15, v17, v15
	v_dual_cndmask_b32 v17, v12, v19, s2 :: v_dual_cndmask_b32 v12, v13, v12, s2
	v_dual_cndmask_b32 v13, v19, v21, s2 :: v_dual_cndmask_b32 v20, v21, v16, s2
	s_delay_alu instid0(VALU_DEP_3) | instskip(SKIP_1) | instid1(VALU_DEP_4)
	v_sub_nc_u32_e32 v19, 32, v15
	v_cmp_eq_u32_e32 vcc_lo, 0, v15
	v_cndmask_b32_e64 v12, v12, v17, s3
	s_delay_alu instid0(VALU_DEP_4) | instskip(SKIP_1) | instid1(VALU_DEP_2)
	v_cndmask_b32_e64 v17, v17, v13, s3
	v_cndmask_b32_e64 v13, v13, v20, s3
	v_alignbit_b32 v21, v12, v17, v19
	s_delay_alu instid0(VALU_DEP_2) | instskip(NEXT) | instid1(VALU_DEP_1)
	v_alignbit_b32 v18, v17, v13, v19
	v_dual_cndmask_b32 v12, v21, v12 :: v_dual_cndmask_b32 v15, v18, v17
	s_delay_alu instid0(VALU_DEP_1) | instskip(SKIP_1) | instid1(VALU_DEP_3)
	v_bfe_u32 v16, v12, 29, 1
	v_cndmask_b32_e64 v14, v20, v14, s3
	v_alignbit_b32 v17, v12, v15, 30
	s_delay_alu instid0(VALU_DEP_3) | instskip(NEXT) | instid1(VALU_DEP_3)
	v_sub_nc_u32_e32 v18, 0, v16
	v_alignbit_b32 v19, v13, v14, v19
	s_delay_alu instid0(VALU_DEP_1) | instskip(NEXT) | instid1(VALU_DEP_1)
	v_dual_cndmask_b32 v13, v19, v13, vcc_lo :: v_dual_bitop2_b32 v17, v17, v18 bitop3:0x14
	v_clz_i32_u32_e32 v19, v17
	s_delay_alu instid0(VALU_DEP_2) | instskip(SKIP_1) | instid1(VALU_DEP_3)
	v_alignbit_b32 v15, v15, v13, 30
	v_alignbit_b32 v13, v13, v14, 30
	v_min_u32_e32 v19, 32, v19
	s_delay_alu instid0(VALU_DEP_3) | instskip(NEXT) | instid1(VALU_DEP_3)
	v_xor_b32_e32 v14, v15, v18
	v_dual_lshrrev_b32 v18, 29, v12 :: v_dual_bitop2_b32 v13, v13, v18 bitop3:0x14
	s_delay_alu instid0(VALU_DEP_3) | instskip(NEXT) | instid1(VALU_DEP_1)
	v_dual_sub_nc_u32 v15, 31, v19 :: v_dual_lshlrev_b32 v20, 23, v19
	v_alignbit_b32 v17, v17, v14, v15
	s_delay_alu instid0(VALU_DEP_3) | instskip(NEXT) | instid1(VALU_DEP_4)
	v_alignbit_b32 v13, v14, v13, v15
	v_lshlrev_b32_e32 v14, 31, v18
	s_delay_alu instid0(VALU_DEP_2) | instskip(NEXT) | instid1(VALU_DEP_2)
	v_alignbit_b32 v15, v17, v13, 9
	v_dual_lshrrev_b32 v17, 9, v17 :: v_dual_bitop2_b32 v18, 0.5, v14 bitop3:0x54
	v_or_b32_e32 v14, 0x33000000, v14
	s_delay_alu instid0(VALU_DEP_3) | instskip(NEXT) | instid1(VALU_DEP_3)
	v_clz_i32_u32_e32 v21, v15
	v_sub_nc_u32_e32 v18, v18, v20
	s_delay_alu instid0(VALU_DEP_2) | instskip(NEXT) | instid1(VALU_DEP_1)
	v_min_u32_e32 v20, 32, v21
	v_add_lshl_u32 v19, v20, v19, 23
	s_delay_alu instid0(VALU_DEP_3) | instskip(SKIP_1) | instid1(VALU_DEP_2)
	v_or_b32_e32 v17, v17, v18
	v_not_b32_e32 v18, v20
	v_dual_mul_f32 v21, 0x3fc90fda, v17 :: v_dual_sub_nc_u32 v14, v14, v19
	s_delay_alu instid0(VALU_DEP_2) | instskip(NEXT) | instid1(VALU_DEP_2)
	v_alignbit_b32 v13, v15, v13, v18
	v_fma_f32 v15, 0x3fc90fda, v17, -v21
	s_delay_alu instid0(VALU_DEP_2) | instskip(NEXT) | instid1(VALU_DEP_2)
	v_lshrrev_b32_e32 v13, 9, v13
	v_fmamk_f32 v15, v17, 0x33a22168, v15
	s_delay_alu instid0(VALU_DEP_2) | instskip(NEXT) | instid1(VALU_DEP_1)
	v_or_b32_e32 v13, v14, v13
	v_fmac_f32_e32 v15, 0x3fc90fda, v13
	s_delay_alu instid0(VALU_DEP_1) | instskip(NEXT) | instid1(VALU_DEP_1)
	v_dual_add_f32 v12, v21, v15 :: v_dual_lshrrev_b32 v13, 30, v12
	v_add_nc_u32_e32 v13, v16, v13
	s_or_saveexec_b32 s2, s5
	v_mul_f32_e64 v16, 0x3f22f983, |v2|
	s_xor_b32 exec_lo, exec_lo, s2
	s_branch .LBB0_12
.LBB0_11:
	s_or_saveexec_b32 s2, s5
	v_mul_f32_e64 v16, 0x3f22f983, |v2|
	s_xor_b32 exec_lo, exec_lo, s2
.LBB0_12:
	s_delay_alu instid0(VALU_DEP_1) | instskip(NEXT) | instid1(VALU_DEP_1)
	v_rndne_f32_e32 v13, v16
	v_fma_f32 v12, 0xbfc90fda, v13, |v2|
	s_delay_alu instid0(VALU_DEP_1) | instskip(NEXT) | instid1(VALU_DEP_1)
	v_fmamk_f32 v12, v13, 0xb3a22168, v12
	v_fmamk_f32 v12, v13, 0xa7c234c4, v12
	v_cvt_i32_f32_e32 v13, v13
; %bb.13:
	s_or_b32 exec_lo, exec_lo, s2
                                        ; implicit-def: $vgpr15
                                        ; implicit-def: $vgpr14
	s_and_saveexec_b32 s2, s4
	s_delay_alu instid0(SALU_CYCLE_1)
	s_xor_b32 s4, exec_lo, s2
	s_cbranch_execz .LBB0_15
; %bb.14:
	s_mov_b32 s2, 0x7fffff
	v_mov_b32_e32 v15, 0
	v_and_or_b32 v14, v11, s2, 0x800000
	s_mov_b64 s[2:3], 0xfe5163ab
	v_add_nc_u32_e32 v5, 0xffffff88, v5
	s_delay_alu instid0(VALU_DEP_2) | instskip(NEXT) | instid1(VALU_DEP_2)
	v_mul_u64_e32 v[16:17], s[2:3], v[14:15]
	v_cmp_lt_u32_e32 vcc_lo, 63, v5
	s_delay_alu instid0(VALU_DEP_2) | instskip(SKIP_2) | instid1(VALU_DEP_3)
	v_dual_mov_b32 v18, v17 :: v_dual_mov_b32 v19, v15
	v_dual_mov_b32 v21, v15 :: v_dual_mov_b32 v23, v15
	;; [unrolled: 1-line block ×3, first 2 shown]
	v_mad_nc_u64_u32 v[18:19], 0x3c439041, v14, v[18:19]
	v_cndmask_b32_e64 v17, 0, 0xffffffc0, vcc_lo
	s_delay_alu instid0(VALU_DEP_1) | instskip(NEXT) | instid1(VALU_DEP_3)
	v_dual_mov_b32 v29, v15 :: v_dual_add_nc_u32 v5, v17, v5
	v_mov_b32_e32 v20, v19
	s_delay_alu instid0(VALU_DEP_2) | instskip(NEXT) | instid1(VALU_DEP_2)
	v_cmp_lt_u32_e64 s2, 31, v5
	v_mad_nc_u64_u32 v[20:21], 0xdb629599, v14, v[20:21]
	s_delay_alu instid0(VALU_DEP_2) | instskip(NEXT) | instid1(VALU_DEP_1)
	v_cndmask_b32_e64 v17, 0, 0xffffffe0, s2
	v_add_nc_u32_e32 v5, v17, v5
	s_delay_alu instid0(VALU_DEP_3) | instskip(NEXT) | instid1(VALU_DEP_2)
	v_mov_b32_e32 v22, v21
	v_cmp_lt_u32_e64 s3, 31, v5
	v_cndmask_b32_e32 v16, v20, v16, vcc_lo
	s_delay_alu instid0(VALU_DEP_3) | instskip(NEXT) | instid1(VALU_DEP_3)
	v_mad_nc_u64_u32 v[22:23], 0xf534ddc0, v14, v[22:23]
	v_cndmask_b32_e64 v17, 0, 0xffffffe0, s3
	s_delay_alu instid0(VALU_DEP_1) | instskip(NEXT) | instid1(VALU_DEP_3)
	v_dual_add_nc_u32 v5, v17, v5 :: v_dual_cndmask_b32 v17, v22, v18, vcc_lo
	v_mov_b32_e32 v24, v23
	s_delay_alu instid0(VALU_DEP_1) | instskip(NEXT) | instid1(VALU_DEP_1)
	v_mad_nc_u64_u32 v[24:25], 0xfc2757d1, v14, v[24:25]
	v_dual_mov_b32 v26, v25 :: v_dual_cndmask_b32 v21, v24, v20
	s_delay_alu instid0(VALU_DEP_1) | instskip(NEXT) | instid1(VALU_DEP_1)
	v_mad_nc_u64_u32 v[26:27], 0x4e441529, v14, v[26:27]
	v_dual_mov_b32 v28, v27 :: v_dual_cndmask_b32 v19, v26, v22
	s_delay_alu instid0(VALU_DEP_1) | instskip(NEXT) | instid1(VALU_DEP_1)
	v_mad_nc_u64_u32 v[14:15], 0xa2f9836e, v14, v[28:29]
	v_dual_cndmask_b32 v14, v14, v24 :: v_dual_cndmask_b32 v15, v15, v26
	v_cmp_eq_u32_e32 vcc_lo, 0, v5
	s_delay_alu instid0(VALU_DEP_2) | instskip(SKIP_2) | instid1(VALU_DEP_3)
	v_dual_cndmask_b32 v18, v14, v19, s2 :: v_dual_cndmask_b32 v14, v15, v14, s2
	v_cndmask_b32_e64 v15, v19, v21, s2
	v_sub_nc_u32_e32 v19, 32, v5
	v_dual_cndmask_b32 v21, v21, v17, s2 :: v_dual_cndmask_b32 v14, v14, v18, s3
	s_delay_alu instid0(VALU_DEP_3) | instskip(NEXT) | instid1(VALU_DEP_1)
	v_cndmask_b32_e64 v18, v18, v15, s3
	v_alignbit_b32 v22, v14, v18, v19
	s_delay_alu instid0(VALU_DEP_1) | instskip(NEXT) | instid1(VALU_DEP_1)
	v_dual_cndmask_b32 v15, v15, v21, s3 :: v_dual_cndmask_b32 v5, v22, v14, vcc_lo
	v_alignbit_b32 v20, v18, v15, v19
	v_cndmask_b32_e64 v14, v17, v16, s2
	s_delay_alu instid0(VALU_DEP_3) | instskip(NEXT) | instid1(VALU_DEP_3)
	v_bfe_u32 v17, v5, 29, 1
	v_cndmask_b32_e32 v16, v20, v18, vcc_lo
	s_delay_alu instid0(VALU_DEP_2) | instskip(NEXT) | instid1(VALU_DEP_2)
	v_dual_cndmask_b32 v14, v21, v14, s3 :: v_dual_sub_nc_u32 v20, 0, v17
	v_alignbit_b32 v18, v5, v16, 30
	s_delay_alu instid0(VALU_DEP_2) | instskip(NEXT) | instid1(VALU_DEP_1)
	v_alignbit_b32 v19, v15, v14, v19
	v_dual_cndmask_b32 v15, v19, v15, vcc_lo :: v_dual_bitop2_b32 v18, v18, v20 bitop3:0x14
	s_delay_alu instid0(VALU_DEP_1) | instskip(NEXT) | instid1(VALU_DEP_2)
	v_clz_i32_u32_e32 v19, v18
	v_alignbit_b32 v16, v16, v15, 30
	v_alignbit_b32 v14, v15, v14, 30
	s_delay_alu instid0(VALU_DEP_3) | instskip(NEXT) | instid1(VALU_DEP_3)
	v_min_u32_e32 v19, 32, v19
	v_xor_b32_e32 v15, v16, v20
	s_delay_alu instid0(VALU_DEP_3) | instskip(NEXT) | instid1(VALU_DEP_3)
	v_dual_lshrrev_b32 v20, 29, v5 :: v_dual_bitop2_b32 v14, v14, v20 bitop3:0x14
	v_dual_lshrrev_b32 v5, 30, v5 :: v_dual_sub_nc_u32 v16, 31, v19
	v_lshlrev_b32_e32 v21, 23, v19
	s_delay_alu instid0(VALU_DEP_2) | instskip(NEXT) | instid1(VALU_DEP_4)
	v_alignbit_b32 v18, v18, v15, v16
	v_alignbit_b32 v14, v15, v14, v16
	v_lshlrev_b32_e32 v15, 31, v20
	s_delay_alu instid0(VALU_DEP_2) | instskip(NEXT) | instid1(VALU_DEP_2)
	v_alignbit_b32 v16, v18, v14, 9
	v_dual_lshrrev_b32 v18, 9, v18 :: v_dual_bitop2_b32 v20, 0.5, v15 bitop3:0x54
	v_or_b32_e32 v15, 0x33000000, v15
	s_delay_alu instid0(VALU_DEP_3) | instskip(NEXT) | instid1(VALU_DEP_3)
	v_clz_i32_u32_e32 v22, v16
	v_sub_nc_u32_e32 v20, v20, v21
	s_delay_alu instid0(VALU_DEP_2) | instskip(NEXT) | instid1(VALU_DEP_1)
	v_min_u32_e32 v21, 32, v22
	v_add_lshl_u32 v19, v21, v19, 23
	s_delay_alu instid0(VALU_DEP_1) | instskip(SKIP_1) | instid1(VALU_DEP_1)
	v_dual_sub_nc_u32 v15, v15, v19 :: v_dual_bitop2_b32 v18, v18, v20 bitop3:0x54
	v_not_b32_e32 v20, v21
	v_alignbit_b32 v14, v16, v14, v20
	s_delay_alu instid0(VALU_DEP_1) | instskip(NEXT) | instid1(VALU_DEP_4)
	v_lshrrev_b32_e32 v14, 9, v14
	v_mul_f32_e32 v22, 0x3fc90fda, v18
	s_delay_alu instid0(VALU_DEP_2) | instskip(NEXT) | instid1(VALU_DEP_2)
	v_or_b32_e32 v14, v15, v14
	v_fma_f32 v16, 0x3fc90fda, v18, -v22
	s_delay_alu instid0(VALU_DEP_1) | instskip(NEXT) | instid1(VALU_DEP_1)
	v_dual_fmamk_f32 v16, v18, 0x33a22168, v16 :: v_dual_add_nc_u32 v15, v17, v5
	v_fmac_f32_e32 v16, 0x3fc90fda, v14
	s_delay_alu instid0(VALU_DEP_1)
	v_add_f32_e32 v14, v22, v16
                                        ; implicit-def: $vgpr16
	s_or_saveexec_b32 s2, s4
	v_ashrrev_i32_e32 v5, 31, v4
	s_xor_b32 exec_lo, exec_lo, s2
	s_cbranch_execnz .LBB0_16
	s_branch .LBB0_17
.LBB0_15:
	s_or_saveexec_b32 s2, s4
	v_ashrrev_i32_e32 v5, 31, v4
	s_xor_b32 exec_lo, exec_lo, s2
.LBB0_16:
	v_rndne_f32_e32 v15, v16
	s_delay_alu instid0(VALU_DEP_1) | instskip(NEXT) | instid1(VALU_DEP_1)
	v_fma_f32 v14, 0xbfc90fda, v15, |v2|
	v_fmamk_f32 v14, v15, 0xb3a22168, v14
	s_delay_alu instid0(VALU_DEP_1)
	v_fmamk_f32 v14, v15, 0xa7c234c4, v14
	v_cvt_i32_f32_e32 v15, v15
.LBB0_17:
	s_or_b32 exec_lo, exec_lo, s2
	v_dual_mul_f32 v16, v12, v12 :: v_dual_mul_f32 v19, v7, v7
	s_mov_b32 s6, 0xb94c1982
	s_mov_b32 s7, 0x37d75334
	v_and_b32_e32 v23, 1, v8
	s_delay_alu instid0(VALU_DEP_2)
	v_fmaak_f32 v17, s6, v16, 0x3c0881c4
	v_fmaak_f32 v18, s7, v16, 0xbab64f3b
	v_xor_b32_e32 v11, v11, v2
	v_cmp_class_f32_e64 s2, v2, 0x1f8
	s_mov_b64 s[4:5], 0xfe5163ab
	v_dual_fmaak_f32 v17, v16, v17, 0xbe2aaa9d :: v_dual_lshlrev_b32 v8, 30, v8
	v_fmaak_f32 v22, s7, v19, 0xbab64f3b
	s_mov_b32 s8, 0
	s_mov_b32 s9, 0x7fffff
	s_delay_alu instid0(VALU_DEP_2) | instskip(SKIP_3) | instid1(VALU_DEP_3)
	v_mul_f32_e32 v17, v16, v17
	v_fmaak_f32 v21, s6, v19, 0x3c0881c4
	v_and_b32_e32 v8, 0x80000000, v8
	s_mov_b32 s10, 0x3b2d2a58
	v_fmac_f32_e32 v12, v12, v17
	v_dual_lshlrev_b32 v13, 30, v13 :: v_dual_bitop2_b32 v20, 1, v13 bitop3:0x40
	v_fmaak_f32 v21, v19, v21, 0xbe2aaa9d
	v_fmaak_f32 v18, v16, v18, 0x3d2aabf7
	s_delay_alu instid0(VALU_DEP_3) | instskip(NEXT) | instid1(VALU_DEP_4)
	v_cmp_eq_u32_e32 vcc_lo, 0, v20
	v_and_b32_e32 v13, 0x80000000, v13
	s_delay_alu instid0(VALU_DEP_3) | instskip(NEXT) | instid1(VALU_DEP_1)
	v_dual_mul_f32 v17, v19, v21 :: v_dual_fmaak_f32 v18, v16, v18, 0xbf000004
	v_fmac_f32_e32 v7, v7, v17
	s_delay_alu instid0(VALU_DEP_2) | instskip(NEXT) | instid1(VALU_DEP_1)
	v_fma_f32 v16, v16, v18, 1.0
	v_dual_mul_f32 v17, v9, v9 :: v_dual_cndmask_b32 v12, v16, v12
	s_delay_alu instid0(VALU_DEP_1) | instskip(NEXT) | instid1(VALU_DEP_2)
	v_xor3_b32 v11, v11, v13, v12
	v_dual_mul_f32 v12, v14, v14 :: v_dual_fmaak_f32 v13, s6, v17, 0x3c0881c4
	s_delay_alu instid0(VALU_DEP_1) | instskip(NEXT) | instid1(VALU_DEP_1)
	v_fmaak_f32 v13, v17, v13, 0xbe2aaa9d
	v_mul_f32_e32 v13, v17, v13
	v_cmp_eq_u32_e32 vcc_lo, 0, v23
	v_fmaak_f32 v22, v19, v22, 0x3d2aabf7
	s_delay_alu instid0(VALU_DEP_3) | instskip(NEXT) | instid1(VALU_DEP_2)
	v_dual_fmac_f32 v9, v9, v13 :: v_dual_bitop2_b32 v6, v6, v0 bitop3:0x14
	v_fmaak_f32 v18, v19, v22, 0xbf000004
	s_delay_alu instid0(VALU_DEP_1) | instskip(SKIP_2) | instid1(VALU_DEP_3)
	v_fma_f32 v16, v19, v18, 1.0
	v_fmaak_f32 v18, s6, v12, 0x3c0881c4
	v_fmaak_f32 v19, s7, v12, 0xbab64f3b
	v_cndmask_b32_e32 v7, v16, v7, vcc_lo
	v_fmaak_f32 v16, s7, v17, 0xbab64f3b
	s_delay_alu instid0(VALU_DEP_2) | instskip(NEXT) | instid1(VALU_DEP_2)
	v_xor3_b32 v6, v6, v8, v7
	v_dual_fmaak_f32 v7, v17, v16, 0x3d2aabf7 :: v_dual_fmaak_f32 v16, v12, v19, 0x3d2aabf7
	v_fmaak_f32 v8, v12, v18, 0xbe2aaa9d
	v_mul_f32_e32 v18, 0x3c8efa35, v3
	s_delay_alu instid0(VALU_DEP_4) | instskip(NEXT) | instid1(VALU_DEP_4)
	v_mul_f32_e32 v6, 0x3f7f2445, v6
	v_fmaak_f32 v7, v17, v7, 0xbf000004
	v_fmaak_f32 v13, v12, v16, 0xbf000004
	v_dual_mul_f32 v8, v12, v8 :: v_dual_bitop2_b32 v16, 1, v10 bitop3:0x40
	s_delay_alu instid0(VALU_DEP_3) | instskip(NEXT) | instid1(VALU_DEP_2)
	v_fma_f32 v7, v17, v7, 1.0
	v_dual_fmac_f32 v14, v14, v8 :: v_dual_bitop2_b32 v8, 1, v15 bitop3:0x40
	s_delay_alu instid0(VALU_DEP_3) | instskip(NEXT) | instid1(VALU_DEP_3)
	v_cmp_eq_u32_e32 vcc_lo, 0, v16
	v_dual_cndmask_b32 v7, -v9, v7, vcc_lo :: v_dual_lshlrev_b32 v9, 30, v10
	s_delay_alu instid0(VALU_DEP_3) | instskip(SKIP_2) | instid1(VALU_DEP_1)
	v_cmp_eq_u32_e32 vcc_lo, 0, v8
	v_lshlrev_b32_e32 v10, 30, v15
	v_fma_f32 v12, v12, v13, 1.0
	v_cndmask_b32_e64 v8, -v14, v12, vcc_lo
	v_cmp_class_f32_e64 vcc_lo, v0, 0x1f8
	v_bitop3_b32 v0, v9, v7, 0x80000000 bitop3:0x6c
	v_mul_f32_e32 v7, 0x3f7f2445, v11
	s_delay_alu instid0(VALU_DEP_4) | instskip(NEXT) | instid1(VALU_DEP_2)
	v_bitop3_b32 v2, v10, v8, 0x80000000 bitop3:0x6c
	v_cndmask_b32_e64 v7, 0x7fc00000, v7, s2
	s_delay_alu instid0(VALU_DEP_2) | instskip(NEXT) | instid1(VALU_DEP_1)
	v_cndmask_b32_e64 v2, 0x7fc00000, v2, s2
	v_div_scale_f32 v9, null, v2, v2, v7
	s_delay_alu instid0(VALU_DEP_1) | instskip(SKIP_1) | instid1(TRANS32_DEP_1)
	v_rcp_f32_e32 v11, v9
	v_nop
	v_fma_f32 v13, -v9, v11, 1.0
	s_delay_alu instid0(VALU_DEP_1) | instskip(SKIP_1) | instid1(VALU_DEP_1)
	v_dual_cndmask_b32 v6, 0x7fc00000, v6 :: v_dual_fmac_f32 v11, v13, v11
	v_div_scale_f32 v13, s2, v7, v2, v7
	v_dual_cndmask_b32 v0, 0x7fc00000, v0 :: v_dual_mul_f32 v15, v13, v11
	s_delay_alu instid0(VALU_DEP_1) | instskip(NEXT) | instid1(VALU_DEP_2)
	v_div_scale_f32 v8, null, v0, v0, v6
	v_fma_f32 v17, -v9, v15, v13
	s_delay_alu instid0(VALU_DEP_2) | instskip(NEXT) | instid1(VALU_DEP_1)
	v_rcp_f32_e32 v10, v8
	v_fmac_f32_e32 v15, v17, v11
	s_delay_alu instid0(TRANS32_DEP_1) | instskip(NEXT) | instid1(VALU_DEP_1)
	v_fma_f32 v12, -v8, v10, 1.0
	v_dual_fma_f32 v9, -v9, v15, v13 :: v_dual_fmac_f32 v10, v12, v10
	v_div_scale_f32 v12, vcc_lo, v6, v0, v6
	s_delay_alu instid0(VALU_DEP_1) | instskip(NEXT) | instid1(VALU_DEP_1)
	v_mul_f32_e32 v14, v12, v10
	v_fma_f32 v16, -v8, v14, v12
	s_delay_alu instid0(VALU_DEP_1) | instskip(NEXT) | instid1(VALU_DEP_1)
	v_fmac_f32_e32 v14, v16, v10
	v_fma_f32 v8, -v8, v14, v12
	s_delay_alu instid0(VALU_DEP_1) | instskip(SKIP_2) | instid1(VALU_DEP_2)
	v_div_fmas_f32 v8, v8, v10, v14
	s_mov_b32 vcc_lo, s2
	v_div_fmas_f32 v9, v9, v11, v15
	v_div_fixup_f32 v6, v8, v0, v6
	s_delay_alu instid0(VALU_DEP_2) | instskip(NEXT) | instid1(VALU_DEP_2)
	v_div_fixup_f32 v2, v9, v2, v7
	v_fma_f32 v0, v6, v6, 1.0
	s_delay_alu instid0(VALU_DEP_2) | instskip(NEXT) | instid1(VALU_DEP_2)
	v_fma_f32 v7, v2, v2, 1.0
	v_mul_f32_e32 v8, 0x4f800000, v0
	v_cmp_gt_f32_e32 vcc_lo, 0xf800000, v0
	s_delay_alu instid0(VALU_DEP_3) | instskip(SKIP_1) | instid1(VALU_DEP_1)
	v_mul_f32_e32 v9, 0x4f800000, v7
	v_cmp_gt_f32_e64 s2, 0xf800000, v7
	v_dual_cndmask_b32 v0, v0, v8, vcc_lo :: v_dual_cndmask_b32 v7, v7, v9, s2
	s_delay_alu instid0(VALU_DEP_1) | instskip(NEXT) | instid1(VALU_DEP_1)
	v_sqrt_f32_e32 v8, v0
	v_sqrt_f32_e32 v9, v7
	s_delay_alu instid0(TRANS32_DEP_2) | instskip(NEXT) | instid1(TRANS32_DEP_1)
	v_dual_add_nc_u32 v10, -1, v8 :: v_dual_add_nc_u32 v12, 1, v8
	v_dual_add_nc_u32 v13, 1, v9 :: v_dual_add_nc_u32 v11, -1, v9
	s_delay_alu instid0(VALU_DEP_2) | instskip(NEXT) | instid1(VALU_DEP_2)
	v_dual_fma_f32 v14, -v10, v8, v0 :: v_dual_fma_f32 v16, -v12, v8, v0
	v_dual_fma_f32 v17, -v13, v9, v7 :: v_dual_fma_f32 v15, -v11, v9, v7
	s_delay_alu instid0(VALU_DEP_2) | instskip(NEXT) | instid1(VALU_DEP_1)
	v_cmp_ge_f32_e64 s3, 0, v14
	v_cndmask_b32_e64 v8, v8, v10, s3
	s_delay_alu instid0(VALU_DEP_3) | instskip(NEXT) | instid1(VALU_DEP_1)
	v_cmp_ge_f32_e64 s3, 0, v15
	v_cndmask_b32_e64 v9, v9, v11, s3
	v_cmp_lt_f32_e64 s3, 0, v16
	s_delay_alu instid0(VALU_DEP_1) | instskip(SKIP_1) | instid1(VALU_DEP_1)
	v_cndmask_b32_e64 v8, v8, v12, s3
	v_cmp_lt_f32_e64 s3, 0, v17
	v_cndmask_b32_e64 v9, v9, v13, s3
	s_delay_alu instid0(VALU_DEP_1) | instskip(NEXT) | instid1(VALU_DEP_1)
	v_dual_mul_f32 v10, 0x37800000, v8 :: v_dual_mul_f32 v11, 0x37800000, v9
	v_cndmask_b32_e32 v8, v8, v10, vcc_lo
	v_cmp_class_f32_e64 vcc_lo, v0, 0x260
	s_delay_alu instid0(VALU_DEP_1) | instskip(SKIP_1) | instid1(VALU_DEP_2)
	v_dual_cndmask_b32 v9, v9, v11, s2 :: v_dual_cndmask_b32 v0, v8, v0, vcc_lo
	v_cmp_class_f32_e64 vcc_lo, v7, 0x260
	v_cndmask_b32_e32 v7, v9, v7, vcc_lo
	s_delay_alu instid0(VALU_DEP_3) | instskip(SKIP_1) | instid1(VALU_DEP_3)
	v_div_scale_f32 v8, null, v0, v0, 1.0
	v_div_scale_f32 v14, vcc_lo, 1.0, v0, 1.0
	v_div_scale_f32 v9, null, v7, v7, 1.0
	s_delay_alu instid0(VALU_DEP_3) | instskip(NEXT) | instid1(VALU_DEP_1)
	v_rcp_f32_e32 v10, v8
	v_rcp_f32_e32 v11, v9
	s_delay_alu instid0(TRANS32_DEP_2) | instskip(NEXT) | instid1(TRANS32_DEP_1)
	v_fma_f32 v12, -v8, v10, 1.0
	v_fma_f32 v13, -v9, v11, 1.0
	s_delay_alu instid0(VALU_DEP_2) | instskip(SKIP_1) | instid1(VALU_DEP_2)
	v_fmac_f32_e32 v10, v12, v10
	v_div_scale_f32 v12, s2, 1.0, v7, 1.0
	v_dual_fmac_f32 v11, v13, v11 :: v_dual_mul_f32 v13, v14, v10
	s_delay_alu instid0(VALU_DEP_1) | instskip(NEXT) | instid1(VALU_DEP_1)
	v_mul_f32_e32 v15, v12, v11
	v_dual_fma_f32 v16, -v8, v13, v14 :: v_dual_fma_f32 v17, -v9, v15, v12
	s_delay_alu instid0(VALU_DEP_1) | instskip(SKIP_1) | instid1(VALU_DEP_2)
	v_dual_fmac_f32 v13, v16, v10 :: v_dual_fmac_f32 v15, v17, v11
	v_mul_f32_e32 v17, 0x3c8efa35, v1
	v_dual_fma_f32 v8, -v8, v13, v14 :: v_dual_fma_f32 v9, -v9, v15, v12
	s_delay_alu instid0(VALU_DEP_2) | instskip(NEXT) | instid1(VALU_DEP_2)
	v_fma_f32 v23, 0x3c8efa35, v3, -v17
	v_div_fmas_f32 v8, v8, v10, v13
	s_mov_b32 vcc_lo, s2
	s_load_b64 s[2:3], s[0:1], 0x8
	v_div_fmas_f32 v9, v9, v11, v15
	v_dual_mov_b32 v10, 0x3b5bbad4 :: v_dual_mov_b32 v11, -1.0
	v_div_fixup_f32 v8, v8, v0, 1.0
	s_delay_alu instid0(VALU_DEP_3) | instskip(SKIP_1) | instid1(VALU_DEP_2)
	v_div_fixup_f32 v0, v9, v7, 1.0
	v_dual_mov_b32 v9, 2.0 :: v_dual_mov_b32 v7, 0
	v_mul_f32_e32 v16, v8, v0
	s_delay_alu instid0(VALU_DEP_1) | instskip(NEXT) | instid1(VALU_DEP_1)
	v_dual_mul_f32 v1, v2, v16 :: v_dual_mov_b32 v2, 0x3d800000
	v_dual_mul_f32 v19, v6, v1 :: v_dual_mul_f32 v8, v6, v8
	s_delay_alu instid0(VALU_DEP_1) | instskip(NEXT) | instid1(VALU_DEP_2)
	v_add_f32_e32 v22, v19, v19
	v_dual_mov_b32 v20, 0x4016cbe4 :: v_dual_mul_f32 v21, v8, v0
	s_branch .LBB0_19
.LBB0_18:                               ;   in Loop: Header=BB0_19 Depth=1
	s_or_b32 exec_lo, exec_lo, s0
	v_max_num_f32_e64 v13, |v6|, |v6|
	v_max_num_f32_e64 v14, |v3|, |v3|
	v_cmp_gt_f32_e64 vcc_lo, |v6|, |v3|
	v_cmp_class_f32_e64 s0, v3, 0x204
	v_cmp_class_f32_e64 s1, v6, 0x204
	s_delay_alu instid0(VALU_DEP_4) | instskip(NEXT) | instid1(VALU_DEP_1)
	v_dual_max_num_f32 v15, v14, v13 :: v_dual_min_num_f32 v13, v14, v13
	v_frexp_mant_f32_e32 v26, v15
	v_frexp_exp_i32_f32_e32 v14, v15
	s_delay_alu instid0(VALU_DEP_2)
	v_rcp_f32_e32 v15, v26
	v_nop
	v_frexp_exp_i32_f32_e32 v26, v13
	v_frexp_mant_f32_e32 v13, v13
	s_delay_alu instid0(TRANS32_DEP_1) | instid1(VALU_DEP_1)
	v_dual_mul_f32 v13, v13, v15 :: v_dual_sub_nc_u32 v14, v26, v14
	v_fma_f32 v26, 0xc0400000, v8, 4.0
	s_delay_alu instid0(VALU_DEP_2) | instskip(NEXT) | instid1(VALU_DEP_1)
	v_ldexp_f32 v13, v13, v14
	v_mul_f32_e32 v14, v13, v13
	s_delay_alu instid0(VALU_DEP_1) | instskip(NEXT) | instid1(VALU_DEP_1)
	v_fmaak_f32 v15, s10, v14, 0xbc7a590c
	v_fmaak_f32 v15, v14, v15, 0x3d29fb3f
	s_delay_alu instid0(VALU_DEP_1) | instskip(NEXT) | instid1(VALU_DEP_1)
	v_fmaak_f32 v15, v14, v15, 0xbd97d4d7
	v_fmaak_f32 v15, v14, v15, 0x3dd931b2
	;; [unrolled: 3-line block ×3, first 2 shown]
	s_delay_alu instid0(VALU_DEP_1) | instskip(NEXT) | instid1(VALU_DEP_1)
	v_fmaak_f32 v15, v14, v15, 0xbeaaaa62
	v_dual_mul_f32 v14, v14, v15 :: v_dual_mul_f32 v15, v24, v24
	s_delay_alu instid0(VALU_DEP_1) | instskip(NEXT) | instid1(VALU_DEP_1)
	v_fmac_f32_e32 v13, v13, v14
	v_sub_f32_e32 v14, 0x3fc90fdb, v13
	s_delay_alu instid0(VALU_DEP_1) | instskip(SKIP_2) | instid1(VALU_DEP_3)
	v_cndmask_b32_e32 v13, v13, v14, vcc_lo
	v_cmp_gt_i32_e32 vcc_lo, 0, v3
	v_fma_f32 v14, 0x3b5bbad4, v26, 4.0
	v_sub_f32_e32 v29, 0x40490fdb, v13
	v_cndmask_b32_e64 v28, 0, 0x40490fdb, vcc_lo
	v_cmp_gt_f32_e32 vcc_lo, 0, v3
	s_delay_alu instid0(VALU_DEP_4)
	v_pk_mul_f32 v[26:27], v[8:9], v[14:15]
	v_pk_fma_f32 v[14:15], v[8:9], v[14:15], v[10:11]
	v_cndmask_b32_e32 v13, v13, v29, vcc_lo
	v_cndmask_b32_e32 v14, 0x3f490fdb, v20, vcc_lo
	v_cmp_eq_f32_e32 vcc_lo, 0, v12
	v_pk_mul_f32 v[26:27], v[26:27], v[10:11]
	s_delay_alu instid0(VALU_DEP_4) | instskip(SKIP_1) | instid1(VALU_DEP_1)
	v_dual_mov_b32 v27, v15 :: v_dual_cndmask_b32 v28, v13, v28
	s_and_b32 vcc_lo, s0, s1
	v_pk_mul_f32 v[12:13], v[2:3], v[26:27]
	s_delay_alu instid0(VALU_DEP_2) | instskip(SKIP_1) | instid1(VALU_DEP_3)
	v_cndmask_b32_e32 v14, v28, v14, vcc_lo
	v_cmp_o_f32_e32 vcc_lo, v3, v6
	v_fma_f32 v26, v12, v13, v24
	s_delay_alu instid0(VALU_DEP_3) | instskip(NEXT) | instid1(VALU_DEP_2)
	v_cndmask_b32_e32 v3, 0x7fc00000, v14, vcc_lo
	v_mul_f32_e32 v14, v6, v26
	s_delay_alu instid0(VALU_DEP_2) | instskip(NEXT) | instid1(VALU_DEP_1)
	v_bfi_b32 v3, 0x7fffffff, v3, v6
	v_dual_fma_f32 v14, v12, v14, v3 :: v_dual_sub_f32 v12, 1.0, v12
	s_delay_alu instid0(VALU_DEP_1) | instskip(NEXT) | instid1(VALU_DEP_1)
	v_mul_f32_e32 v14, v25, v14
	v_mul_f32_e32 v12, v12, v14
	s_delay_alu instid0(VALU_DEP_1) | instskip(NEXT) | instid1(VALU_DEP_1)
	v_fmamk_f32 v12, v12, 0x3b5bbad4, v18
	v_sub_f32_e32 v12, v12, v17
	s_delay_alu instid0(VALU_DEP_1) | instskip(NEXT) | instid1(VALU_DEP_1)
	v_dual_sub_f32 v14, v23, v12 :: v_dual_mov_b32 v23, v12
	v_cmp_nlt_f32_e64 s0, 0x36a7c5ac, |v14|
	s_or_b32 s8, s0, s8
	s_delay_alu instid0(SALU_CYCLE_1)
	s_and_not1_b32 exec_lo, exec_lo, s8
	s_cbranch_execz .LBB0_29
.LBB0_19:                               ; =>This Inner Loop Header: Depth=1
	v_and_b32_e32 v3, 0x7fffffff, v23
	v_cmp_ngt_f32_e64 s11, 0x48000000, |v23|
                                        ; implicit-def: $vgpr12
	s_delay_alu instid0(VALU_DEP_2) | instskip(SKIP_1) | instid1(VALU_DEP_2)
	v_lshrrev_b32_e32 v8, 23, v3
	v_and_or_b32 v6, v3, s9, 0x800000
	v_add_nc_u32_e32 v13, 0xffffff88, v8
                                        ; implicit-def: $vgpr8
	s_wait_xcnt 0x0
	s_and_saveexec_b32 s0, s11
	s_delay_alu instid0(SALU_CYCLE_1)
	s_xor_b32 s12, exec_lo, s0
	s_cbranch_execz .LBB0_21
; %bb.20:                               ;   in Loop: Header=BB0_19 Depth=1
	v_mul_u64_e32 v[14:15], s[4:5], v[6:7]
	v_mov_b32_e32 v25, v7
	v_cmp_lt_u32_e32 vcc_lo, 63, v13
	v_mov_b32_e32 v35, v7
	v_cndmask_b32_e64 v8, 0, 0xffffffc0, vcc_lo
	s_delay_alu instid0(VALU_DEP_1) | instskip(NEXT) | instid1(VALU_DEP_1)
	v_add_nc_u32_e32 v8, v8, v13
	v_cmp_lt_u32_e64 s0, 31, v8
	s_delay_alu instid0(VALU_DEP_1) | instskip(NEXT) | instid1(VALU_DEP_1)
	v_cndmask_b32_e64 v12, 0, 0xffffffe0, s0
	v_dual_add_nc_u32 v8, v12, v8 :: v_dual_mov_b32 v24, v15
	s_delay_alu instid0(VALU_DEP_1) | instskip(NEXT) | instid1(VALU_DEP_2)
	v_cmp_lt_u32_e64 s1, 31, v8
	v_mad_nc_u64_u32 v[24:25], 0x3c439041, v6, v[24:25]
	v_mov_b32_e32 v27, v7
	s_delay_alu instid0(VALU_DEP_3) | instskip(NEXT) | instid1(VALU_DEP_3)
	v_cndmask_b32_e64 v12, 0, 0xffffffe0, s1
	v_mov_b32_e32 v26, v25
	s_delay_alu instid0(VALU_DEP_1) | instskip(NEXT) | instid1(VALU_DEP_1)
	v_mad_nc_u64_u32 v[26:27], 0xdb629599, v6, v[26:27]
	v_dual_mov_b32 v29, v7 :: v_dual_mov_b32 v28, v27
	s_delay_alu instid0(VALU_DEP_2) | instskip(NEXT) | instid1(VALU_DEP_2)
	v_cndmask_b32_e32 v14, v26, v14, vcc_lo
	v_mad_nc_u64_u32 v[28:29], 0xf534ddc0, v6, v[28:29]
	s_delay_alu instid0(VALU_DEP_1) | instskip(NEXT) | instid1(VALU_DEP_1)
	v_dual_mov_b32 v31, v7 :: v_dual_mov_b32 v30, v29
	v_mad_nc_u64_u32 v[30:31], 0xfc2757d1, v6, v[30:31]
	s_delay_alu instid0(VALU_DEP_1) | instskip(NEXT) | instid1(VALU_DEP_2)
	v_dual_mov_b32 v33, v7 :: v_dual_mov_b32 v32, v31
	v_cndmask_b32_e32 v29, v30, v26, vcc_lo
	s_delay_alu instid0(VALU_DEP_2) | instskip(NEXT) | instid1(VALU_DEP_1)
	v_mad_nc_u64_u32 v[32:33], 0x4e441529, v6, v[32:33]
	v_mov_b32_e32 v34, v33
	s_delay_alu instid0(VALU_DEP_1) | instskip(NEXT) | instid1(VALU_DEP_1)
	v_mad_nc_u64_u32 v[34:35], 0xa2f9836e, v6, v[34:35]
	v_dual_cndmask_b32 v15, v32, v28, vcc_lo :: v_dual_cndmask_b32 v25, v34, v30, vcc_lo
	s_delay_alu instid0(VALU_DEP_2) | instskip(SKIP_1) | instid1(VALU_DEP_3)
	v_cndmask_b32_e32 v27, v35, v32, vcc_lo
	v_add_nc_u32_e32 v8, v12, v8
	v_dual_cndmask_b32 v12, v28, v24, vcc_lo :: v_dual_cndmask_b32 v24, v25, v15, s0
	s_delay_alu instid0(VALU_DEP_3) | instskip(NEXT) | instid1(VALU_DEP_3)
	v_cndmask_b32_e64 v25, v27, v25, s0
	v_dual_cndmask_b32 v15, v15, v29, s0 :: v_dual_sub_nc_u32 v27, 32, v8
	s_delay_alu instid0(VALU_DEP_3) | instskip(SKIP_1) | instid1(VALU_DEP_3)
	v_cndmask_b32_e64 v28, v29, v12, s0
	v_cmp_eq_u32_e32 vcc_lo, 0, v8
	v_dual_cndmask_b32 v25, v25, v24, s1 :: v_dual_cndmask_b32 v24, v24, v15, s1
	s_delay_alu instid0(VALU_DEP_1) | instskip(NEXT) | instid1(VALU_DEP_1)
	v_alignbit_b32 v29, v25, v24, v27
	v_dual_cndmask_b32 v15, v15, v28, s1 :: v_dual_cndmask_b32 v8, v29, v25, vcc_lo
	s_delay_alu instid0(VALU_DEP_1) | instskip(NEXT) | instid1(VALU_DEP_1)
	v_alignbit_b32 v26, v24, v15, v27
	v_dual_cndmask_b32 v12, v12, v14, s0 :: v_dual_cndmask_b32 v14, v26, v24, vcc_lo
	s_delay_alu instid0(VALU_DEP_3) | instskip(NEXT) | instid1(VALU_DEP_2)
	v_bfe_u32 v24, v8, 29, 1
	v_alignbit_b32 v25, v8, v14, 30
	s_delay_alu instid0(VALU_DEP_2) | instskip(NEXT) | instid1(VALU_DEP_1)
	v_sub_nc_u32_e32 v26, 0, v24
	v_dual_cndmask_b32 v12, v28, v12, s1 :: v_dual_bitop2_b32 v25, v25, v26 bitop3:0x14
	s_delay_alu instid0(VALU_DEP_1) | instskip(NEXT) | instid1(VALU_DEP_1)
	v_alignbit_b32 v27, v15, v12, v27
	v_cndmask_b32_e32 v15, v27, v15, vcc_lo
	s_delay_alu instid0(VALU_DEP_3) | instskip(NEXT) | instid1(VALU_DEP_2)
	v_clz_i32_u32_e32 v27, v25
	v_alignbit_b32 v14, v14, v15, 30
	s_delay_alu instid0(VALU_DEP_2) | instskip(SKIP_1) | instid1(VALU_DEP_2)
	v_min_u32_e32 v27, 32, v27
	v_alignbit_b32 v12, v15, v12, 30
	v_dual_sub_nc_u32 v15, 31, v27 :: v_dual_bitop2_b32 v14, v14, v26 bitop3:0x14
	s_delay_alu instid0(VALU_DEP_2) | instskip(SKIP_1) | instid1(VALU_DEP_3)
	v_dual_lshrrev_b32 v26, 29, v8 :: v_dual_bitop2_b32 v12, v12, v26 bitop3:0x14
	v_lshlrev_b32_e32 v28, 23, v27
	v_alignbit_b32 v25, v25, v14, v15
	s_delay_alu instid0(VALU_DEP_3) | instskip(NEXT) | instid1(VALU_DEP_4)
	v_alignbit_b32 v12, v14, v12, v15
	v_lshlrev_b32_e32 v14, 31, v26
	s_delay_alu instid0(VALU_DEP_2) | instskip(NEXT) | instid1(VALU_DEP_2)
	v_alignbit_b32 v15, v25, v12, 9
	v_dual_lshrrev_b32 v25, 9, v25 :: v_dual_bitop2_b32 v26, 0.5, v14 bitop3:0x54
	v_or_b32_e32 v14, 0x33000000, v14
	s_delay_alu instid0(VALU_DEP_3) | instskip(NEXT) | instid1(VALU_DEP_3)
	v_clz_i32_u32_e32 v29, v15
	v_sub_nc_u32_e32 v26, v26, v28
	s_delay_alu instid0(VALU_DEP_2) | instskip(NEXT) | instid1(VALU_DEP_1)
	v_min_u32_e32 v28, 32, v29
	v_add_lshl_u32 v27, v28, v27, 23
	s_delay_alu instid0(VALU_DEP_3) | instskip(SKIP_1) | instid1(VALU_DEP_2)
	v_or_b32_e32 v25, v25, v26
	v_not_b32_e32 v26, v28
	v_dual_mul_f32 v29, 0x3fc90fda, v25 :: v_dual_sub_nc_u32 v14, v14, v27
	s_delay_alu instid0(VALU_DEP_2) | instskip(NEXT) | instid1(VALU_DEP_2)
	v_alignbit_b32 v12, v15, v12, v26
	v_fma_f32 v15, 0x3fc90fda, v25, -v29
	s_delay_alu instid0(VALU_DEP_1) | instskip(NEXT) | instid1(VALU_DEP_1)
	v_dual_fmac_f32 v15, 0x33a22168, v25 :: v_dual_lshrrev_b32 v12, 9, v12
	v_or_b32_e32 v12, v14, v12
	s_delay_alu instid0(VALU_DEP_1) | instskip(SKIP_1) | instid1(VALU_DEP_1)
	v_fmac_f32_e32 v15, 0x3fc90fda, v12
	v_lshrrev_b32_e32 v12, 30, v8
	v_dual_add_nc_u32 v12, v24, v12 :: v_dual_add_f32 v8, v29, v15
.LBB0_21:                               ;   in Loop: Header=BB0_19 Depth=1
	s_or_saveexec_b32 s0, s12
	v_mul_f32_e64 v14, 0x3f22f983, |v23|
	s_delay_alu instid0(VALU_DEP_1)
	v_rndne_f32_e32 v24, v14
	s_xor_b32 exec_lo, exec_lo, s0
; %bb.22:                               ;   in Loop: Header=BB0_19 Depth=1
	s_delay_alu instid0(VALU_DEP_1) | instskip(SKIP_1) | instid1(VALU_DEP_2)
	v_fma_f32 v8, 0xbfc90fda, v24, |v23|
	v_cvt_i32_f32_e32 v12, v24
	v_fmac_f32_e32 v8, 0xb3a22168, v24
	s_delay_alu instid0(VALU_DEP_1)
	v_fmac_f32_e32 v8, 0xa7c234c4, v24
; %bb.23:                               ;   in Loop: Header=BB0_19 Depth=1
	s_or_b32 exec_lo, exec_lo, s0
                                        ; implicit-def: $vgpr15
                                        ; implicit-def: $vgpr14
	s_and_saveexec_b32 s0, s11
	s_delay_alu instid0(SALU_CYCLE_1)
	s_xor_b32 s11, exec_lo, s0
	s_cbranch_execz .LBB0_25
; %bb.24:                               ;   in Loop: Header=BB0_19 Depth=1
	v_mul_u64_e32 v[14:15], s[4:5], v[6:7]
	v_mov_b32_e32 v25, v7
	v_cmp_lt_u32_e32 vcc_lo, 63, v13
	s_delay_alu instid0(VALU_DEP_3) | instskip(SKIP_1) | instid1(VALU_DEP_2)
	v_mov_b32_e32 v24, v15
	v_cndmask_b32_e64 v15, 0, 0xffffffc0, vcc_lo
	v_mad_nc_u64_u32 v[24:25], 0x3c439041, v6, v[24:25]
	s_delay_alu instid0(VALU_DEP_1) | instskip(NEXT) | instid1(VALU_DEP_1)
	v_dual_mov_b32 v27, v7 :: v_dual_mov_b32 v26, v25
	v_mad_nc_u64_u32 v[26:27], 0xdb629599, v6, v[26:27]
	s_delay_alu instid0(VALU_DEP_1) | instskip(NEXT) | instid1(VALU_DEP_2)
	v_dual_mov_b32 v29, v7 :: v_dual_mov_b32 v28, v27
	v_cndmask_b32_e32 v14, v26, v14, vcc_lo
	s_delay_alu instid0(VALU_DEP_2) | instskip(NEXT) | instid1(VALU_DEP_1)
	v_mad_nc_u64_u32 v[28:29], 0xf534ddc0, v6, v[28:29]
	v_dual_mov_b32 v31, v7 :: v_dual_mov_b32 v30, v29
	s_delay_alu instid0(VALU_DEP_1) | instskip(NEXT) | instid1(VALU_DEP_1)
	v_mad_nc_u64_u32 v[30:31], 0xfc2757d1, v6, v[30:31]
	v_dual_mov_b32 v33, v7 :: v_dual_mov_b32 v32, v31
	s_delay_alu instid0(VALU_DEP_2) | instskip(NEXT) | instid1(VALU_DEP_2)
	v_cndmask_b32_e32 v29, v30, v26, vcc_lo
	v_mad_nc_u64_u32 v[32:33], 0x4e441529, v6, v[32:33]
	v_add_nc_u32_e32 v13, v15, v13
	s_delay_alu instid0(VALU_DEP_2) | instskip(NEXT) | instid1(VALU_DEP_2)
	v_dual_mov_b32 v35, v7 :: v_dual_mov_b32 v34, v33
	v_cmp_lt_u32_e64 s0, 31, v13
	s_delay_alu instid0(VALU_DEP_2) | instskip(NEXT) | instid1(VALU_DEP_2)
	v_mad_nc_u64_u32 v[34:35], 0xa2f9836e, v6, v[34:35]
	v_cndmask_b32_e64 v15, 0, 0xffffffe0, s0
	s_delay_alu instid0(VALU_DEP_1) | instskip(NEXT) | instid1(VALU_DEP_3)
	v_dual_cndmask_b32 v15, v32, v28 :: v_dual_add_nc_u32 v6, v15, v13
	v_cndmask_b32_e32 v25, v34, v30, vcc_lo
	s_delay_alu instid0(VALU_DEP_2) | instskip(SKIP_1) | instid1(VALU_DEP_2)
	v_cmp_lt_u32_e64 s1, 31, v6
	v_cndmask_b32_e32 v27, v35, v32, vcc_lo
	v_cndmask_b32_e64 v13, 0, 0xffffffe0, s1
	s_delay_alu instid0(VALU_DEP_1) | instskip(NEXT) | instid1(VALU_DEP_3)
	v_dual_cndmask_b32 v13, v28, v24 :: v_dual_add_nc_u32 v6, v13, v6
	v_dual_cndmask_b32 v24, v25, v15, s0 :: v_dual_cndmask_b32 v25, v27, v25, s0
	s_delay_alu instid0(VALU_DEP_2) | instskip(NEXT) | instid1(VALU_DEP_3)
	v_dual_cndmask_b32 v15, v15, v29, s0 :: v_dual_sub_nc_u32 v27, 32, v6
	v_cndmask_b32_e64 v28, v29, v13, s0
	v_cmp_eq_u32_e32 vcc_lo, 0, v6
	s_delay_alu instid0(VALU_DEP_3) | instskip(NEXT) | instid1(VALU_DEP_1)
	v_dual_cndmask_b32 v25, v25, v24, s1 :: v_dual_cndmask_b32 v24, v24, v15, s1
	v_alignbit_b32 v29, v25, v24, v27
	s_delay_alu instid0(VALU_DEP_1) | instskip(NEXT) | instid1(VALU_DEP_1)
	v_dual_cndmask_b32 v15, v15, v28, s1 :: v_dual_cndmask_b32 v6, v29, v25, vcc_lo
	v_alignbit_b32 v26, v24, v15, v27
	s_delay_alu instid0(VALU_DEP_1) | instskip(NEXT) | instid1(VALU_DEP_3)
	v_dual_cndmask_b32 v13, v13, v14, s0 :: v_dual_cndmask_b32 v14, v26, v24, vcc_lo
	v_bfe_u32 v24, v6, 29, 1
	s_delay_alu instid0(VALU_DEP_2) | instskip(NEXT) | instid1(VALU_DEP_3)
	v_cndmask_b32_e64 v13, v28, v13, s1
	v_alignbit_b32 v25, v6, v14, 30
	s_delay_alu instid0(VALU_DEP_3) | instskip(NEXT) | instid1(VALU_DEP_3)
	v_sub_nc_u32_e32 v26, 0, v24
	v_alignbit_b32 v27, v15, v13, v27
	s_delay_alu instid0(VALU_DEP_1) | instskip(NEXT) | instid1(VALU_DEP_1)
	v_dual_cndmask_b32 v15, v27, v15, vcc_lo :: v_dual_bitop2_b32 v25, v25, v26 bitop3:0x14
	v_clz_i32_u32_e32 v27, v25
	s_delay_alu instid0(VALU_DEP_2) | instskip(SKIP_1) | instid1(VALU_DEP_3)
	v_alignbit_b32 v14, v14, v15, 30
	v_alignbit_b32 v13, v15, v13, 30
	v_min_u32_e32 v27, 32, v27
	s_delay_alu instid0(VALU_DEP_3) | instskip(NEXT) | instid1(VALU_DEP_3)
	v_xor_b32_e32 v14, v14, v26
	v_xor_b32_e32 v13, v13, v26
	v_dual_lshrrev_b32 v26, 29, v6 :: v_dual_lshrrev_b32 v6, 30, v6
	s_delay_alu instid0(VALU_DEP_4) | instskip(NEXT) | instid1(VALU_DEP_1)
	v_dual_sub_nc_u32 v15, 31, v27 :: v_dual_lshlrev_b32 v28, 23, v27
	v_alignbit_b32 v25, v25, v14, v15
	s_delay_alu instid0(VALU_DEP_4) | instskip(NEXT) | instid1(VALU_DEP_4)
	v_alignbit_b32 v13, v14, v13, v15
	v_lshlrev_b32_e32 v14, 31, v26
	s_delay_alu instid0(VALU_DEP_2) | instskip(NEXT) | instid1(VALU_DEP_2)
	v_alignbit_b32 v15, v25, v13, 9
	v_dual_lshrrev_b32 v25, 9, v25 :: v_dual_bitop2_b32 v26, 0.5, v14 bitop3:0x54
	v_or_b32_e32 v14, 0x33000000, v14
	s_delay_alu instid0(VALU_DEP_3) | instskip(NEXT) | instid1(VALU_DEP_3)
	v_clz_i32_u32_e32 v29, v15
	v_sub_nc_u32_e32 v26, v26, v28
	s_delay_alu instid0(VALU_DEP_2) | instskip(NEXT) | instid1(VALU_DEP_1)
	v_min_u32_e32 v28, 32, v29
	v_add_lshl_u32 v27, v28, v27, 23
	s_delay_alu instid0(VALU_DEP_3) | instskip(SKIP_1) | instid1(VALU_DEP_2)
	v_or_b32_e32 v25, v25, v26
	v_not_b32_e32 v26, v28
	v_dual_mul_f32 v29, 0x3fc90fda, v25 :: v_dual_sub_nc_u32 v14, v14, v27
	s_delay_alu instid0(VALU_DEP_2) | instskip(NEXT) | instid1(VALU_DEP_2)
	v_alignbit_b32 v13, v15, v13, v26
	v_fma_f32 v15, 0x3fc90fda, v25, -v29
	s_delay_alu instid0(VALU_DEP_2) | instskip(NEXT) | instid1(VALU_DEP_2)
	v_lshrrev_b32_e32 v13, 9, v13
	v_fmac_f32_e32 v15, 0x33a22168, v25
	s_delay_alu instid0(VALU_DEP_2) | instskip(NEXT) | instid1(VALU_DEP_1)
	v_or_b32_e32 v13, v14, v13
	v_fmac_f32_e32 v15, 0x3fc90fda, v13
	s_delay_alu instid0(VALU_DEP_1)
	v_dual_add_f32 v14, v29, v15 :: v_dual_add_nc_u32 v15, v24, v6
                                        ; implicit-def: $vgpr24
	s_and_not1_saveexec_b32 s0, s11
	s_cbranch_execnz .LBB0_26
	s_branch .LBB0_27
.LBB0_25:                               ;   in Loop: Header=BB0_19 Depth=1
	s_and_not1_saveexec_b32 s0, s11
.LBB0_26:                               ;   in Loop: Header=BB0_19 Depth=1
	v_fma_f32 v14, 0xbfc90fda, v24, |v23|
	v_cvt_i32_f32_e32 v15, v24
	s_delay_alu instid0(VALU_DEP_2) | instskip(NEXT) | instid1(VALU_DEP_1)
	v_fmac_f32_e32 v14, 0xb3a22168, v24
	v_fmac_f32_e32 v14, 0xa7c234c4, v24
.LBB0_27:                               ;   in Loop: Header=BB0_19 Depth=1
	s_or_b32 exec_lo, exec_lo, s0
	s_delay_alu instid0(VALU_DEP_1) | instskip(SKIP_1) | instid1(VALU_DEP_2)
	v_dual_mul_f32 v6, v8, v8 :: v_dual_mul_f32 v13, v14, v14
	v_dual_lshlrev_b32 v12, 30, v12 :: v_dual_bitop2_b32 v24, 1, v12 bitop3:0x40
	v_fmaak_f32 v27, s6, v13, 0x3c0881c4
	s_delay_alu instid0(VALU_DEP_2) | instskip(NEXT) | instid1(VALU_DEP_3)
	v_cmp_eq_u32_e32 vcc_lo, 0, v24
	v_and_b32_e32 v12, 0x80000000, v12
	s_delay_alu instid0(VALU_DEP_3) | instskip(NEXT) | instid1(VALU_DEP_1)
	v_fmaak_f32 v27, v13, v27, 0xbe2aaa9d
	v_dual_fmaak_f32 v28, s7, v13, 0xbab64f3b :: v_dual_mul_f32 v27, v13, v27
	v_fmaak_f32 v25, s6, v6, 0x3c0881c4
	s_delay_alu instid0(VALU_DEP_2) | instskip(NEXT) | instid1(VALU_DEP_3)
	v_fmaak_f32 v28, v13, v28, 0x3d2aabf7
	v_fmac_f32_e32 v14, v14, v27
	s_delay_alu instid0(VALU_DEP_3) | instskip(SKIP_1) | instid1(VALU_DEP_2)
	v_fmaak_f32 v25, v6, v25, 0xbe2aaa9d
	v_fmaak_f32 v26, s7, v6, 0xbab64f3b
	v_dual_fmaak_f32 v28, v13, v28, 0xbf000004 :: v_dual_mul_f32 v25, v6, v25
	s_delay_alu instid0(VALU_DEP_2) | instskip(NEXT) | instid1(VALU_DEP_2)
	v_fmaak_f32 v26, v6, v26, 0x3d2aabf7
	v_fma_f32 v13, v13, v28, 1.0
	v_dual_lshlrev_b32 v15, 30, v15 :: v_dual_bitop2_b32 v29, 1, v15 bitop3:0x40
	s_delay_alu instid0(VALU_DEP_4) | instskip(NEXT) | instid1(VALU_DEP_4)
	v_dual_fmac_f32 v8, v8, v25 :: v_dual_bitop2_b32 v3, v3, v23 bitop3:0x14
	v_fmaak_f32 v26, v6, v26, 0xbf000004
	s_delay_alu instid0(VALU_DEP_1) | instskip(NEXT) | instid1(VALU_DEP_1)
	v_fma_f32 v6, v6, v26, 1.0
	v_cndmask_b32_e32 v6, v6, v8, vcc_lo
	v_cmp_eq_u32_e32 vcc_lo, 0, v29
	s_delay_alu instid0(VALU_DEP_2) | instskip(SKIP_2) | instid1(VALU_DEP_2)
	v_xor3_b32 v3, v3, v12, v6
	v_cndmask_b32_e64 v8, -v14, v13, vcc_lo
	v_cmp_class_f32_e64 vcc_lo, v23, 0x1f8
	v_bitop3_b32 v6, v15, v8, 0x80000000 bitop3:0x6c
	s_delay_alu instid0(VALU_DEP_4) | instskip(NEXT) | instid1(VALU_DEP_2)
	v_cndmask_b32_e32 v14, 0x7fc00000, v3, vcc_lo
	v_cndmask_b32_e32 v3, 0x7fc00000, v6, vcc_lo
	s_delay_alu instid0(VALU_DEP_1) | instskip(NEXT) | instid1(VALU_DEP_1)
	v_mul_f32_e32 v15, v21, v3
	v_pk_add_f32 v[12:13], v[0:1], v[14:15] neg_lo:[0,1] neg_hi:[0,1]
	v_pk_mul_f32 v[24:25], v[0:1], v[14:15]
	s_delay_alu instid0(VALU_DEP_2) | instskip(NEXT) | instid1(VALU_DEP_1)
	v_mov_b32_e32 v25, v13
	v_pk_mul_f32 v[12:13], v[24:25], v[24:25]
	s_delay_alu instid0(VALU_DEP_1) | instskip(NEXT) | instid1(VALU_DEP_1)
	v_add_f32_e32 v12, v12, v13
	v_mul_f32_e32 v6, 0x4f800000, v12
	v_cmp_gt_f32_e32 vcc_lo, 0xf800000, v12
	s_delay_alu instid0(VALU_DEP_2) | instskip(NEXT) | instid1(VALU_DEP_1)
	v_cndmask_b32_e32 v6, v12, v6, vcc_lo
	v_sqrt_f32_e32 v8, v6
	v_nop
	s_delay_alu instid0(TRANS32_DEP_1) | instskip(NEXT) | instid1(VALU_DEP_1)
	v_dual_add_nc_u32 v13, -1, v8 :: v_dual_add_nc_u32 v15, 1, v8
	v_fma_f32 v24, -v13, v8, v6
	s_delay_alu instid0(VALU_DEP_1) | instskip(NEXT) | instid1(VALU_DEP_1)
	v_cmp_ge_f32_e64 s0, 0, v24
	v_dual_fma_f32 v25, -v15, v8, v6 :: v_dual_cndmask_b32 v8, v8, v13, s0
	s_delay_alu instid0(VALU_DEP_1) | instskip(NEXT) | instid1(VALU_DEP_1)
	v_cmp_lt_f32_e64 s0, 0, v25
	v_cndmask_b32_e64 v8, v8, v15, s0
	s_mov_b32 s0, exec_lo
	s_delay_alu instid0(VALU_DEP_1) | instskip(NEXT) | instid1(VALU_DEP_1)
	v_mul_f32_e32 v13, 0x37800000, v8
	v_cndmask_b32_e32 v8, v8, v13, vcc_lo
	v_cmp_class_f32_e64 vcc_lo, v6, 0x260
	v_mul_f32_e32 v13, v16, v14
	s_delay_alu instid0(VALU_DEP_3) | instskip(NEXT) | instid1(VALU_DEP_1)
	v_cndmask_b32_e32 v6, v8, v6, vcc_lo
	v_div_scale_f32 v8, null, v6, v6, v13
	v_div_scale_f32 v24, vcc_lo, v13, v6, v13
	s_delay_alu instid0(VALU_DEP_2) | instskip(SKIP_1) | instid1(TRANS32_DEP_1)
	v_rcp_f32_e32 v14, v8
	v_nop
	v_fma_f32 v15, -v8, v14, 1.0
	s_delay_alu instid0(VALU_DEP_1) | instskip(NEXT) | instid1(VALU_DEP_1)
	v_fmac_f32_e32 v14, v15, v14
	v_mul_f32_e32 v15, v24, v14
	s_delay_alu instid0(VALU_DEP_1) | instskip(NEXT) | instid1(VALU_DEP_1)
	v_fma_f32 v25, -v8, v15, v24
	v_fmac_f32_e32 v15, v25, v14
	s_delay_alu instid0(VALU_DEP_1) | instskip(SKIP_1) | instid1(VALU_DEP_2)
	v_dual_fma_f32 v8, -v8, v15, v24 :: v_dual_mov_b32 v24, v22
	v_fma_f32 v3, v16, v3, v19
	v_div_fmas_f32 v8, v8, v14, v15
	s_delay_alu instid0(VALU_DEP_1) | instskip(NEXT) | instid1(VALU_DEP_1)
	v_div_fixup_f32 v25, v8, v6, v13
	v_fma_f32 v8, -v25, v25, 1.0
	s_delay_alu instid0(VALU_DEP_1)
	v_cmpx_lt_f32_e32 0, v8
	s_cbranch_execz .LBB0_18
; %bb.28:                               ;   in Loop: Header=BB0_19 Depth=1
	v_div_scale_f32 v13, null, v8, v8, v22
	s_delay_alu instid0(VALU_DEP_1) | instskip(SKIP_1) | instid1(TRANS32_DEP_1)
	v_rcp_f32_e32 v14, v13
	v_nop
	v_fma_f32 v15, -v13, v14, 1.0
	s_delay_alu instid0(VALU_DEP_1) | instskip(SKIP_1) | instid1(VALU_DEP_1)
	v_fmac_f32_e32 v14, v15, v14
	v_div_scale_f32 v15, vcc_lo, v22, v8, v22
	v_mul_f32_e32 v24, v15, v14
	s_delay_alu instid0(VALU_DEP_1) | instskip(NEXT) | instid1(VALU_DEP_1)
	v_fma_f32 v26, -v13, v24, v15
	v_fmac_f32_e32 v24, v26, v14
	s_delay_alu instid0(VALU_DEP_1) | instskip(NEXT) | instid1(VALU_DEP_1)
	v_fma_f32 v13, -v13, v24, v15
	v_div_fmas_f32 v13, v13, v14, v24
	s_delay_alu instid0(VALU_DEP_1) | instskip(NEXT) | instid1(VALU_DEP_1)
	v_div_fixup_f32 v13, v13, v8, v22
	v_sub_f32_e32 v24, v3, v13
	s_branch .LBB0_18
.LBB0_29:
	s_or_b32 exec_lo, exec_lo, s8
	v_mov_b32_e32 v2, 1.0
	s_delay_alu instid0(VALU_DEP_1) | instskip(NEXT) | instid1(VALU_DEP_1)
	v_fmamk_f32 v0, v8, 0x3bdcd6ff, v2
	v_mul_f32_e32 v1, 0x4f800000, v0
	v_cmp_gt_f32_e32 vcc_lo, 0xf800000, v0
	s_delay_alu instid0(VALU_DEP_2) | instskip(NEXT) | instid1(VALU_DEP_1)
	v_cndmask_b32_e32 v0, v0, v1, vcc_lo
	v_sqrt_f32_e32 v1, v0
	v_nop
	s_delay_alu instid0(TRANS32_DEP_1) | instskip(NEXT) | instid1(VALU_DEP_1)
	v_dual_add_nc_u32 v7, -1, v1 :: v_dual_add_nc_u32 v8, 1, v1
	v_dual_fma_f32 v9, -v7, v1, v0 :: v_dual_fma_f32 v10, -v8, v1, v0
	s_delay_alu instid0(VALU_DEP_1) | instskip(NEXT) | instid1(VALU_DEP_1)
	v_cmp_ge_f32_e64 s0, 0, v9
	v_cndmask_b32_e64 v1, v1, v7, s0
	s_delay_alu instid0(VALU_DEP_3) | instskip(NEXT) | instid1(VALU_DEP_1)
	v_cmp_lt_f32_e64 s0, 0, v10
	v_cndmask_b32_e64 v1, v1, v8, s0
	s_delay_alu instid0(VALU_DEP_1) | instskip(NEXT) | instid1(VALU_DEP_1)
	v_mul_f32_e32 v7, 0x37800000, v1
	v_cndmask_b32_e32 v1, v1, v7, vcc_lo
	v_cmp_class_f32_e64 vcc_lo, v0, 0x260
	s_delay_alu instid0(VALU_DEP_2) | instskip(NEXT) | instid1(VALU_DEP_1)
	v_cndmask_b32_e32 v0, v1, v0, vcc_lo
	v_add_f32_e32 v0, 1.0, v0
	s_delay_alu instid0(VALU_DEP_1) | instskip(NEXT) | instid1(VALU_DEP_1)
	v_add_f32_e32 v1, -2.0, v0
	v_div_scale_f32 v7, null, v0, v0, v1
	v_div_scale_f32 v10, vcc_lo, v1, v0, v1
	s_delay_alu instid0(VALU_DEP_2) | instskip(SKIP_1) | instid1(TRANS32_DEP_1)
	v_rcp_f32_e32 v8, v7
	v_nop
	v_fma_f32 v9, -v7, v8, 1.0
	s_delay_alu instid0(VALU_DEP_1) | instskip(NEXT) | instid1(VALU_DEP_1)
	v_fmac_f32_e32 v8, v9, v8
	v_mul_f32_e32 v9, v10, v8
	s_delay_alu instid0(VALU_DEP_1) | instskip(NEXT) | instid1(VALU_DEP_1)
	v_fma_f32 v11, -v7, v9, v10
	v_fmac_f32_e32 v9, v11, v8
	s_delay_alu instid0(VALU_DEP_1) | instskip(NEXT) | instid1(VALU_DEP_1)
	v_fma_f32 v7, -v7, v9, v10
	v_div_fmas_f32 v7, v7, v8, v9
	v_dual_sub_f32 v8, 1.0, v15 :: v_dual_mul_f32 v9, v6, v6
	s_delay_alu instid0(VALU_DEP_2) | instskip(NEXT) | instid1(VALU_DEP_2)
	v_div_fixup_f32 v0, v7, v0, v1
	v_sub_f32_e32 v1, v8, v15
	s_delay_alu instid0(VALU_DEP_3) | instskip(NEXT) | instid1(VALU_DEP_1)
	v_fmaak_f32 v7, 4.0, v9, 0xc0400000
	v_dual_mul_f32 v8, 0x3ec00000, v0 :: v_dual_mul_f32 v7, v7, v1
	s_delay_alu instid0(VALU_DEP_1) | instskip(NEXT) | instid1(VALU_DEP_2)
	v_fma_f32 v1, v0, v8, -1.0
	v_mul_f32_e32 v7, v24, v7
	s_delay_alu instid0(VALU_DEP_2) | instskip(NEXT) | instid1(VALU_DEP_1)
	v_pk_mul_f32 v[8:9], v[0:1], v[0:1] op_sel_hi:[0,1]
	v_mul_f32_e32 v1, v9, v7
	s_delay_alu instid0(VALU_DEP_1) | instskip(SKIP_1) | instid1(VALU_DEP_2)
	v_div_scale_f32 v7, null, 0x40c00000, 0x40c00000, v1
	v_div_scale_f32 v12, vcc_lo, v1, 0x40c00000, v1
	v_rcp_f32_e32 v10, v7
	v_nop
	s_delay_alu instid0(TRANS32_DEP_1) | instskip(NEXT) | instid1(VALU_DEP_1)
	v_fma_f32 v11, -v7, v10, 1.0
	v_fmac_f32_e32 v10, v11, v10
	s_delay_alu instid0(VALU_DEP_1) | instskip(NEXT) | instid1(VALU_DEP_1)
	v_mul_f32_e32 v11, v12, v10
	v_fma_f32 v14, -v7, v11, v12
	s_delay_alu instid0(VALU_DEP_1) | instskip(NEXT) | instid1(VALU_DEP_1)
	v_fmac_f32_e32 v11, v14, v10
	v_fma_f32 v7, -v7, v11, v12
	s_delay_alu instid0(VALU_DEP_1) | instskip(SKIP_1) | instid1(VALU_DEP_2)
	v_div_fmas_f32 v7, v7, v10, v11
	v_mov_b32_e32 v10, 0x3e800000
	v_div_fixup_f32 v1, v7, 0x40c00000, v1
	s_delay_alu instid0(VALU_DEP_1) | instskip(NEXT) | instid1(VALU_DEP_1)
	v_sub_f32_e32 v1, v1, v13
	v_mul_f32_e32 v1, v9, v1
	s_delay_alu instid0(VALU_DEP_1) | instskip(NEXT) | instid1(VALU_DEP_1)
	v_fmac_f32_e32 v24, 0x3e800000, v1
	v_mul_f32_e32 v11, v6, v24
	v_sub_f32_e32 v6, 1.0, v0
	s_delay_alu instid0(VALU_DEP_2) | instskip(NEXT) | instid1(VALU_DEP_1)
	v_pk_fma_f32 v[0:1], v[8:9], v[10:11], v[2:3]
	v_div_scale_f32 v2, null, v6, v6, v0
	v_div_scale_f32 v8, vcc_lo, v0, v6, v0
	s_delay_alu instid0(VALU_DEP_2) | instskip(SKIP_1) | instid1(TRANS32_DEP_1)
	v_rcp_f32_e32 v3, v2
	v_nop
	v_fma_f32 v7, -v2, v3, 1.0
	s_delay_alu instid0(VALU_DEP_1) | instskip(NEXT) | instid1(VALU_DEP_1)
	v_fmac_f32_e32 v3, v7, v3
	v_mul_f32_e32 v7, v8, v3
	s_delay_alu instid0(VALU_DEP_1) | instskip(NEXT) | instid1(VALU_DEP_1)
	v_fma_f32 v9, -v2, v7, v8
	v_fmac_f32_e32 v7, v9, v3
	s_delay_alu instid0(VALU_DEP_1) | instskip(NEXT) | instid1(VALU_DEP_1)
	v_fma_f32 v2, -v2, v7, v8
	v_div_fmas_f32 v2, v2, v3, v7
	s_delay_alu instid0(VALU_DEP_1) | instskip(NEXT) | instid1(VALU_DEP_1)
	v_div_fixup_f32 v0, v2, v6, v0
	v_mul_f32_e32 v0, v0, v1
	s_delay_alu instid0(VALU_DEP_1)
	v_mul_f32_e32 v2, 0x4ac1fe21, v0
	s_wait_kmcnt 0x0
	v_lshl_add_u64 v[0:1], v[4:5], 2, s[2:3]
	global_store_b32 v[0:1], v2, off
.LBB0_30:
	s_endpgm
	.section	.rodata,"a",@progbits
	.p2align	6, 0x0
	.amdhsa_kernel _Z15kernel_distancePK15HIP_vector_typeIfLj4EEPfi
		.amdhsa_group_segment_fixed_size 0
		.amdhsa_private_segment_fixed_size 0
		.amdhsa_kernarg_size 280
		.amdhsa_user_sgpr_count 2
		.amdhsa_user_sgpr_dispatch_ptr 0
		.amdhsa_user_sgpr_queue_ptr 0
		.amdhsa_user_sgpr_kernarg_segment_ptr 1
		.amdhsa_user_sgpr_dispatch_id 0
		.amdhsa_user_sgpr_kernarg_preload_length 0
		.amdhsa_user_sgpr_kernarg_preload_offset 0
		.amdhsa_user_sgpr_private_segment_size 0
		.amdhsa_wavefront_size32 1
		.amdhsa_uses_dynamic_stack 0
		.amdhsa_enable_private_segment 0
		.amdhsa_system_sgpr_workgroup_id_x 1
		.amdhsa_system_sgpr_workgroup_id_y 0
		.amdhsa_system_sgpr_workgroup_id_z 0
		.amdhsa_system_sgpr_workgroup_info 0
		.amdhsa_system_vgpr_workitem_id 0
		.amdhsa_next_free_vgpr 36
		.amdhsa_next_free_sgpr 13
		.amdhsa_named_barrier_count 0
		.amdhsa_reserve_vcc 1
		.amdhsa_float_round_mode_32 0
		.amdhsa_float_round_mode_16_64 0
		.amdhsa_float_denorm_mode_32 3
		.amdhsa_float_denorm_mode_16_64 3
		.amdhsa_fp16_overflow 0
		.amdhsa_memory_ordered 1
		.amdhsa_forward_progress 1
		.amdhsa_inst_pref_size 64
		.amdhsa_round_robin_scheduling 0
		.amdhsa_exception_fp_ieee_invalid_op 0
		.amdhsa_exception_fp_denorm_src 0
		.amdhsa_exception_fp_ieee_div_zero 0
		.amdhsa_exception_fp_ieee_overflow 0
		.amdhsa_exception_fp_ieee_underflow 0
		.amdhsa_exception_fp_ieee_inexact 0
		.amdhsa_exception_int_div_zero 0
	.end_amdhsa_kernel
	.text
.Lfunc_end0:
	.size	_Z15kernel_distancePK15HIP_vector_typeIfLj4EEPfi, .Lfunc_end0-_Z15kernel_distancePK15HIP_vector_typeIfLj4EEPfi
                                        ; -- End function
	.set _Z15kernel_distancePK15HIP_vector_typeIfLj4EEPfi.num_vgpr, 36
	.set _Z15kernel_distancePK15HIP_vector_typeIfLj4EEPfi.num_agpr, 0
	.set _Z15kernel_distancePK15HIP_vector_typeIfLj4EEPfi.numbered_sgpr, 13
	.set _Z15kernel_distancePK15HIP_vector_typeIfLj4EEPfi.num_named_barrier, 0
	.set _Z15kernel_distancePK15HIP_vector_typeIfLj4EEPfi.private_seg_size, 0
	.set _Z15kernel_distancePK15HIP_vector_typeIfLj4EEPfi.uses_vcc, 1
	.set _Z15kernel_distancePK15HIP_vector_typeIfLj4EEPfi.uses_flat_scratch, 0
	.set _Z15kernel_distancePK15HIP_vector_typeIfLj4EEPfi.has_dyn_sized_stack, 0
	.set _Z15kernel_distancePK15HIP_vector_typeIfLj4EEPfi.has_recursion, 0
	.set _Z15kernel_distancePK15HIP_vector_typeIfLj4EEPfi.has_indirect_call, 0
	.section	.AMDGPU.csdata,"",@progbits
; Kernel info:
; codeLenInByte = 8176
; TotalNumSgprs: 15
; NumVgprs: 36
; ScratchSize: 0
; MemoryBound: 0
; FloatMode: 240
; IeeeMode: 1
; LDSByteSize: 0 bytes/workgroup (compile time only)
; SGPRBlocks: 0
; VGPRBlocks: 2
; NumSGPRsForWavesPerEU: 15
; NumVGPRsForWavesPerEU: 36
; NamedBarCnt: 0
; Occupancy: 16
; WaveLimiterHint : 0
; COMPUTE_PGM_RSRC2:SCRATCH_EN: 0
; COMPUTE_PGM_RSRC2:USER_SGPR: 2
; COMPUTE_PGM_RSRC2:TRAP_HANDLER: 0
; COMPUTE_PGM_RSRC2:TGID_X_EN: 1
; COMPUTE_PGM_RSRC2:TGID_Y_EN: 0
; COMPUTE_PGM_RSRC2:TGID_Z_EN: 0
; COMPUTE_PGM_RSRC2:TIDIG_COMP_CNT: 0
	.text
	.p2alignl 7, 3214868480
	.fill 96, 4, 3214868480
	.section	.AMDGPU.gpr_maximums,"",@progbits
	.set amdgpu.max_num_vgpr, 0
	.set amdgpu.max_num_agpr, 0
	.set amdgpu.max_num_sgpr, 0
	.text
	.type	__hip_cuid_5514784018fc289f,@object ; @__hip_cuid_5514784018fc289f
	.section	.bss,"aw",@nobits
	.globl	__hip_cuid_5514784018fc289f
__hip_cuid_5514784018fc289f:
	.byte	0                               ; 0x0
	.size	__hip_cuid_5514784018fc289f, 1

	.ident	"AMD clang version 22.0.0git (https://github.com/RadeonOpenCompute/llvm-project roc-7.2.4 26084 f58b06dce1f9c15707c5f808fd002e18c2accf7e)"
	.section	".note.GNU-stack","",@progbits
	.addrsig
	.addrsig_sym __hip_cuid_5514784018fc289f
	.amdgpu_metadata
---
amdhsa.kernels:
  - .args:
      - .actual_access:  read_only
        .address_space:  global
        .offset:         0
        .size:           8
        .value_kind:     global_buffer
      - .actual_access:  write_only
        .address_space:  global
        .offset:         8
        .size:           8
        .value_kind:     global_buffer
      - .offset:         16
        .size:           4
        .value_kind:     by_value
      - .offset:         24
        .size:           4
        .value_kind:     hidden_block_count_x
      - .offset:         28
        .size:           4
        .value_kind:     hidden_block_count_y
      - .offset:         32
        .size:           4
        .value_kind:     hidden_block_count_z
      - .offset:         36
        .size:           2
        .value_kind:     hidden_group_size_x
      - .offset:         38
        .size:           2
        .value_kind:     hidden_group_size_y
      - .offset:         40
        .size:           2
        .value_kind:     hidden_group_size_z
      - .offset:         42
        .size:           2
        .value_kind:     hidden_remainder_x
      - .offset:         44
        .size:           2
        .value_kind:     hidden_remainder_y
      - .offset:         46
        .size:           2
        .value_kind:     hidden_remainder_z
      - .offset:         64
        .size:           8
        .value_kind:     hidden_global_offset_x
      - .offset:         72
        .size:           8
        .value_kind:     hidden_global_offset_y
      - .offset:         80
        .size:           8
        .value_kind:     hidden_global_offset_z
      - .offset:         88
        .size:           2
        .value_kind:     hidden_grid_dims
    .group_segment_fixed_size: 0
    .kernarg_segment_align: 8
    .kernarg_segment_size: 280
    .language:       OpenCL C
    .language_version:
      - 2
      - 0
    .max_flat_workgroup_size: 1024
    .name:           _Z15kernel_distancePK15HIP_vector_typeIfLj4EEPfi
    .private_segment_fixed_size: 0
    .sgpr_count:     15
    .sgpr_spill_count: 0
    .symbol:         _Z15kernel_distancePK15HIP_vector_typeIfLj4EEPfi.kd
    .uniform_work_group_size: 1
    .uses_dynamic_stack: false
    .vgpr_count:     36
    .vgpr_spill_count: 0
    .wavefront_size: 32
amdhsa.target:   amdgcn-amd-amdhsa--gfx1250
amdhsa.version:
  - 1
  - 2
...

	.end_amdgpu_metadata
